;; amdgpu-corpus repo=ROCm/rocFFT kind=compiled arch=gfx1201 opt=O3
	.text
	.amdgcn_target "amdgcn-amd-amdhsa--gfx1201"
	.amdhsa_code_object_version 6
	.protected	bluestein_single_fwd_len224_dim1_half_op_CI_CI ; -- Begin function bluestein_single_fwd_len224_dim1_half_op_CI_CI
	.globl	bluestein_single_fwd_len224_dim1_half_op_CI_CI
	.p2align	8
	.type	bluestein_single_fwd_len224_dim1_half_op_CI_CI,@function
bluestein_single_fwd_len224_dim1_half_op_CI_CI: ; @bluestein_single_fwd_len224_dim1_half_op_CI_CI
; %bb.0:
	s_load_b128 s[12:15], s[0:1], 0x28
	v_lshrrev_b32_e32 v1, 4, v0
	v_mov_b32_e32 v3, 0
	s_mov_b32 s2, exec_lo
	s_delay_alu instid0(VALU_DEP_2) | instskip(SKIP_1) | instid1(VALU_DEP_1)
	v_lshl_or_b32 v2, ttmp9, 2, v1
	s_wait_kmcnt 0x0
	v_cmpx_gt_u64_e64 s[12:13], v[2:3]
	s_cbranch_execz .LBB0_2
; %bb.1:
	s_clause 0x1
	s_load_b128 s[4:7], s[0:1], 0x18
	s_load_b128 s[8:11], s[0:1], 0x0
	v_mul_u32_u24_e32 v97, 0xe0, v1
	s_load_b64 s[0:1], s[0:1], 0x38
	s_wait_kmcnt 0x0
	s_load_b128 s[16:19], s[4:5], 0x0
	s_wait_kmcnt 0x0
	v_mad_co_u64_u32 v[4:5], null, s18, v2, 0
	v_and_b32_e32 v119, 15, v0
	s_lshl_b64 s[2:3], s[16:17], 7
	s_mul_i32 s4, s17, 0xfffffd40
	s_delay_alu instid0(SALU_CYCLE_1) | instskip(NEXT) | instid1(VALU_DEP_2)
	s_sub_co_i32 s4, s4, s16
	v_mov_b32_e32 v0, v5
	v_mad_co_u64_u32 v[6:7], null, s16, v119, 0
	v_lshlrev_b32_e32 v129, 2, v119
	v_or_b32_e32 v65, 64, v119
	s_clause 0x1
	global_load_b32 v25, v129, s[8:9]
	global_load_b32 v24, v129, s[8:9] offset:512
	v_mov_b32_e32 v5, v7
	v_mad_co_u64_u32 v[7:8], null, s19, v2, v[0:1]
	s_clause 0xb
	global_load_b32 v26, v129, s[8:9] offset:448
	global_load_b32 v29, v129, s[8:9] offset:384
	global_load_b32 v27, v129, s[8:9] offset:320
	global_load_b32 v31, v129, s[8:9] offset:256
	global_load_b32 v28, v129, s[8:9] offset:192
	global_load_b32 v33, v129, s[8:9] offset:128
	global_load_b32 v30, v129, s[8:9] offset:64
	global_load_b32 v32, v129, s[8:9] offset:832
	global_load_b32 v36, v129, s[8:9] offset:768
	global_load_b32 v34, v129, s[8:9] offset:704
	global_load_b32 v37, v129, s[8:9] offset:640
	global_load_b32 v35, v129, s[8:9] offset:576
	v_mad_co_u64_u32 v[8:9], null, s17, v119, v[5:6]
	v_or_b32_e32 v66, 0x50, v119
	v_mul_lo_u16 v69, 0x93, v65
	v_mov_b32_e32 v5, v7
	v_or_b32_e32 v67, 0x60, v119
	v_mul_u32_u24_e32 v1, 7, v119
	v_mul_lo_u16 v68, 0x93, v66
	v_mov_b32_e32 v7, v8
	v_lshlrev_b64_e32 v[4:5], 2, v[4:5]
	v_lshrrev_b16 v55, 10, v69
	v_mul_lo_u16 v57, 0x93, v67
	v_lshrrev_b16 v56, 10, v68
	v_lshlrev_b64_e32 v[6:7], 2, v[6:7]
	v_add_lshl_u32 v127, v97, v1, 2
	v_add_co_u32 v0, vcc_lo, s14, v4
	v_add_co_ci_u32_e32 v5, vcc_lo, s15, v5, vcc_lo
	v_mul_lo_u16 v38, v55, 7
	s_delay_alu instid0(VALU_DEP_3) | instskip(SKIP_1) | instid1(VALU_DEP_3)
	v_add_co_u32 v4, vcc_lo, v0, v6
	s_wait_alu 0xfffd
	v_add_co_ci_u32_e32 v5, vcc_lo, v5, v7, vcc_lo
	v_lshrrev_b16 v58, 10, v57
	s_delay_alu instid0(VALU_DEP_3) | instskip(SKIP_1) | instid1(VALU_DEP_3)
	v_add_co_u32 v6, vcc_lo, v4, s2
	s_wait_alu 0xfffd
	v_add_co_ci_u32_e32 v7, vcc_lo, s3, v5, vcc_lo
	global_load_b32 v63, v[4:5], off
	v_mul_lo_u16 v39, v56, 7
	v_sub_nc_u16 v38, v65, v38
	global_load_b32 v62, v[6:7], off
	v_add_co_u32 v4, vcc_lo, v6, s2
	s_wait_alu 0xfffd
	v_add_co_ci_u32_e32 v5, vcc_lo, s3, v7, vcc_lo
	v_or_b32_e32 v0, v97, v119
	s_delay_alu instid0(VALU_DEP_3) | instskip(SKIP_1) | instid1(VALU_DEP_3)
	v_add_co_u32 v6, vcc_lo, v4, s2
	s_wait_alu 0xfffd
	v_add_co_ci_u32_e32 v7, vcc_lo, s3, v5, vcc_lo
	global_load_b32 v60, v[4:5], off
	v_mul_lo_u16 v40, v58, 7
	v_sub_nc_u16 v39, v66, v39
	global_load_b32 v61, v[6:7], off
	v_add_co_u32 v4, vcc_lo, v6, s2
	s_wait_alu 0xfffd
	v_add_co_ci_u32_e32 v5, vcc_lo, s3, v7, vcc_lo
	v_and_b32_e32 v53, 0xff, v38
	s_delay_alu instid0(VALU_DEP_3) | instskip(SKIP_1) | instid1(VALU_DEP_3)
	v_add_co_u32 v8, vcc_lo, v4, s2
	s_wait_alu 0xfffd
	v_add_co_ci_u32_e32 v9, vcc_lo, s3, v5, vcc_lo
	global_load_b32 v59, v[4:5], off
	v_add_co_u32 v6, vcc_lo, v8, s2
	s_wait_alu 0xfffd
	v_add_co_ci_u32_e32 v7, vcc_lo, s3, v9, vcc_lo
	global_load_b32 v13, v[8:9], off
	v_sub_nc_u16 v73, v67, v40
	v_and_b32_e32 v54, 0xff, v39
	v_mad_co_u64_u32 v[4:5], null, 0xfffffd40, s16, v[6:7]
	global_load_b32 v12, v[6:7], off
	v_lshl_or_b32 v50, v97, 2, v129
	v_add_nc_u32_e32 v5, s4, v5
	v_add_co_u32 v6, vcc_lo, v4, s2
	s_wait_alu 0xfffd
	s_delay_alu instid0(VALU_DEP_2)
	v_add_co_ci_u32_e32 v7, vcc_lo, s3, v5, vcc_lo
	global_load_b32 v11, v[4:5], off
	v_add_co_u32 v4, vcc_lo, v6, s2
	s_wait_alu 0xfffd
	v_add_co_ci_u32_e32 v5, vcc_lo, s3, v7, vcc_lo
	global_load_b32 v10, v[6:7], off
	global_load_b32 v9, v[4:5], off
	v_add_co_u32 v4, vcc_lo, v4, s2
	s_wait_alu 0xfffd
	v_add_co_ci_u32_e32 v5, vcc_lo, s3, v5, vcc_lo
	s_delay_alu instid0(VALU_DEP_2) | instskip(SKIP_1) | instid1(VALU_DEP_2)
	v_add_co_u32 v6, vcc_lo, v4, s2
	s_wait_alu 0xfffd
	v_add_co_ci_u32_e32 v7, vcc_lo, s3, v5, vcc_lo
	global_load_b32 v8, v[4:5], off
	v_add_co_u32 v14, vcc_lo, v6, s2
	s_wait_alu 0xfffd
	v_add_co_ci_u32_e32 v15, vcc_lo, s3, v7, vcc_lo
	global_load_b32 v5, v[6:7], off
	v_add_co_u32 v16, vcc_lo, v14, s2
	s_wait_alu 0xfffd
	v_add_co_ci_u32_e32 v17, vcc_lo, s3, v15, vcc_lo
	global_load_b32 v7, v[14:15], off
	global_load_b32 v6, v[16:17], off
	v_mul_lo_u16 v15, v119, 37
	v_lshlrev_b32_e32 v16, 2, v0
	s_load_b128 s[4:7], s[6:7], 0x0
	v_or_b32_e32 v4, 48, v119
	v_or_b32_e32 v14, 32, v119
	v_lshrrev_b16 v20, 8, v15
	v_cmp_gt_u32_e32 vcc_lo, 14, v119
	s_delay_alu instid0(VALU_DEP_4) | instskip(NEXT) | instid1(VALU_DEP_4)
	v_mul_lo_u16 v70, v4, 37
	v_mul_lo_u16 v64, v14, 37
	s_delay_alu instid0(VALU_DEP_4) | instskip(NEXT) | instid1(VALU_DEP_3)
	v_mul_lo_u16 v15, v20, 7
	v_lshrrev_b16 v19, 8, v70
	s_delay_alu instid0(VALU_DEP_3) | instskip(NEXT) | instid1(VALU_DEP_3)
	v_lshrrev_b16 v18, 8, v64
	v_sub_nc_u16 v21, v119, v15
	s_delay_alu instid0(VALU_DEP_3) | instskip(NEXT) | instid1(VALU_DEP_3)
	v_mul_lo_u16 v17, v19, 7
	v_mul_lo_u16 v15, v18, 7
	s_delay_alu instid0(VALU_DEP_3)
	v_and_b32_e32 v41, 0xff, v21
	v_mad_u16 v20, v20, 14, v21
	s_wait_kmcnt 0x0
	v_mad_co_u64_u32 v[0:1], null, s6, v2, 0
	v_sub_nc_u16 v23, v4, v17
	v_lshlrev_b32_e32 v74, 2, v41
	v_sub_nc_u16 v22, v14, v15
	v_and_b32_e32 v20, 0xff, v20
	s_delay_alu instid0(VALU_DEP_4)
	v_and_b32_e32 v76, 0xff, v23
	v_mad_co_u64_u32 v[1:2], null, s7, v2, v[1:2]
	v_or_b32_e32 v2, 16, v119
	v_and_b32_e32 v75, 0xff, v22
	v_mad_u16 v18, v18, 14, v22
	v_mad_u16 v19, v19, 14, v23
	s_delay_alu instid0(VALU_DEP_4) | instskip(SKIP_1) | instid1(VALU_DEP_4)
	v_mul_lo_u16 v17, v2, 37
	v_lshlrev_b64_e32 v[0:1], 2, v[0:1]
	v_and_b32_e32 v18, 0xff, v18
	s_delay_alu instid0(VALU_DEP_4) | instskip(NEXT) | instid1(VALU_DEP_4)
	v_and_b32_e32 v19, 0xff, v19
	v_lshrrev_b16 v15, 8, v17
	v_lshrrev_b16 v92, 9, v17
	s_delay_alu instid0(VALU_DEP_2)
	v_mul_lo_u16 v77, v15, 7
	s_wait_loadcnt 0x19
	v_lshrrev_b32_e32 v46, 16, v26
	v_lshrrev_b32_e32 v52, 16, v25
	s_wait_loadcnt 0x18
	v_lshrrev_b32_e32 v39, 16, v29
	s_wait_loadcnt 0x16
	v_lshrrev_b32_e32 v38, 16, v31
	v_lshrrev_b32_e32 v40, 16, v24
	s_wait_loadcnt 0x14
	v_lshrrev_b32_e32 v51, 16, v33
	s_wait_loadcnt 0xf
	v_lshrrev_b32_e32 v41, 16, v37
	v_lshrrev_b32_e32 v42, 16, v36
	v_lshrrev_b32_e32 v43, 16, v30
	v_lshrrev_b32_e32 v44, 16, v28
	v_lshrrev_b32_e32 v45, 16, v27
	s_wait_loadcnt 0xe
	v_lshrrev_b32_e32 v47, 16, v35
	v_lshrrev_b32_e32 v48, 16, v34
	v_lshrrev_b32_e32 v49, 16, v32
	s_wait_loadcnt 0xd
	v_lshrrev_b32_e32 v71, 16, v63
	v_mul_f16_e32 v72, v52, v63
	s_wait_loadcnt 0xc
	v_lshrrev_b32_e32 v79, 16, v62
	s_delay_alu instid0(VALU_DEP_3) | instskip(NEXT) | instid1(VALU_DEP_3)
	v_mul_f16_e32 v78, v52, v71
	v_fma_f16 v71, v25, v71, -v72
	v_mul_f16_e32 v72, v51, v62
	s_delay_alu instid0(VALU_DEP_3) | instskip(SKIP_1) | instid1(VALU_DEP_3)
	v_fmac_f16_e32 v78, v25, v63
	v_mul_f16_e32 v63, v51, v79
	v_fma_f16 v72, v33, v79, -v72
	s_wait_loadcnt 0xb
	v_lshrrev_b32_e32 v80, 16, v60
	v_mul_f16_e32 v81, v38, v60
	v_pack_b32_f16 v71, v78, v71
	v_fmac_f16_e32 v63, v33, v62
	s_wait_loadcnt 0xa
	v_lshrrev_b32_e32 v79, 16, v61
	v_mul_f16_e32 v62, v38, v80
	v_fma_f16 v78, v31, v80, -v81
	v_mul_f16_e32 v80, v39, v61
	ds_store_b32 v16, v71
	v_pack_b32_f16 v63, v63, v72
	v_fmac_f16_e32 v62, v31, v60
	v_mul_f16_e32 v60, v39, v79
	v_fma_f16 v79, v29, v79, -v80
	s_wait_loadcnt 0x9
	v_lshrrev_b32_e32 v71, 16, v59
	v_mul_f16_e32 v72, v40, v59
	v_pack_b32_f16 v62, v62, v78
	v_fmac_f16_e32 v60, v29, v61
	s_delay_alu instid0(VALU_DEP_4) | instskip(NEXT) | instid1(VALU_DEP_4)
	v_mul_f16_e32 v61, v40, v71
	v_fma_f16 v71, v24, v71, -v72
	s_wait_loadcnt 0x8
	v_lshrrev_b32_e32 v72, 16, v13
	v_mul_f16_e32 v78, v41, v13
	v_pack_b32_f16 v60, v60, v79
	s_wait_loadcnt 0x7
	v_lshrrev_b32_e32 v79, 16, v12
	v_fmac_f16_e32 v61, v24, v59
	v_mul_f16_e32 v59, v41, v72
	v_fma_f16 v72, v37, v72, -v78
	v_mul_f16_e32 v78, v42, v12
	v_mul_f16_e32 v80, v42, v79
	v_pack_b32_f16 v61, v61, v71
	v_fmac_f16_e32 v59, v37, v13
	s_delay_alu instid0(VALU_DEP_4) | instskip(NEXT) | instid1(VALU_DEP_4)
	v_fma_f16 v71, v36, v79, -v78
	v_fmac_f16_e32 v80, v36, v12
	s_delay_alu instid0(VALU_DEP_3) | instskip(SKIP_4) | instid1(VALU_DEP_3)
	v_pack_b32_f16 v59, v59, v72
	s_wait_loadcnt 0x6
	v_lshrrev_b32_e32 v13, 16, v11
	v_mul_f16_e32 v12, v43, v11
	v_pack_b32_f16 v71, v80, v71
	v_mul_f16_e32 v72, v43, v13
	s_wait_loadcnt 0x5
	v_lshrrev_b32_e32 v78, 16, v10
	v_fma_f16 v12, v30, v13, -v12
	v_mul_f16_e32 v13, v44, v10
	s_wait_loadcnt 0x4
	v_lshrrev_b32_e32 v79, 16, v9
	v_fmac_f16_e32 v72, v30, v11
	v_mul_f16_e32 v11, v44, v78
	v_mul_f16_e32 v80, v45, v9
	v_fma_f16 v13, v28, v78, -v13
	s_delay_alu instid0(VALU_DEP_4) | instskip(NEXT) | instid1(VALU_DEP_4)
	v_pack_b32_f16 v12, v72, v12
	v_fmac_f16_e32 v11, v28, v10
	v_mul_f16_e32 v10, v45, v79
	s_wait_loadcnt 0x3
	v_lshrrev_b32_e32 v78, 16, v8
	v_fma_f16 v72, v27, v79, -v80
	v_mul_f16_e32 v79, v46, v8
	v_pack_b32_f16 v11, v11, v13
	v_fmac_f16_e32 v10, v27, v9
	v_mul_f16_e32 v9, v46, v78
	s_wait_loadcnt 0x2
	v_lshrrev_b32_e32 v13, 16, v5
	ds_store_2addr_b32 v50, v12, v63 offset0:16 offset1:32
	v_mul_f16_e32 v63, v47, v5
	ds_store_2addr_b32 v50, v11, v62 offset0:48 offset1:64
	v_fmac_f16_e32 v9, v26, v8
	s_wait_loadcnt 0x1
	v_lshrrev_b32_e32 v8, 16, v7
	s_wait_loadcnt 0x0
	v_lshrrev_b32_e32 v62, 16, v6
	v_mul_f16_e32 v11, v47, v13
	v_fma_f16 v12, v26, v78, -v79
	v_fma_f16 v13, v35, v13, -v63
	v_mul_f16_e32 v63, v48, v7
	v_mul_f16_e32 v78, v48, v8
	;; [unrolled: 1-line block ×4, first 2 shown]
	v_fmac_f16_e32 v11, v35, v5
	v_fma_f16 v5, v34, v8, -v63
	v_fmac_f16_e32 v78, v34, v7
	v_fma_f16 v7, v32, v62, -v79
	v_fmac_f16_e32 v80, v32, v6
	v_pack_b32_f16 v6, v10, v72
	v_pack_b32_f16 v8, v9, v12
	;; [unrolled: 1-line block ×5, first 2 shown]
	ds_store_2addr_b32 v50, v6, v60 offset0:80 offset1:96
	ds_store_2addr_b32 v50, v8, v61 offset0:112 offset1:128
	;; [unrolled: 1-line block ×4, first 2 shown]
	ds_store_b32 v50, v7 offset:832
	global_wb scope:SCOPE_SE
	s_wait_dscnt 0x0
	s_barrier_signal -1
	s_barrier_wait -1
	global_inv scope:SCOPE_SE
	ds_load_2addr_b32 v[5:6], v50 offset0:16 offset1:32
	ds_load_2addr_b32 v[7:8], v50 offset0:48 offset1:64
	;; [unrolled: 1-line block ×6, first 2 shown]
	ds_load_b32 v63, v50 offset:832
	v_sub_nc_u16 v59, v2, v77
	v_and_b32_e32 v60, 0xff, v73
	v_lshlrev_b32_e32 v13, 2, v75
	v_lshlrev_b32_e32 v73, 2, v76
	v_mul_u32_u24_e32 v75, 7, v2
	v_and_b32_e32 v76, 0xff, v59
	v_lshlrev_b32_e32 v77, 2, v53
	v_lshlrev_b32_e32 v78, 2, v54
	s_delay_alu instid0(VALU_DEP_4) | instskip(NEXT) | instid1(VALU_DEP_4)
	v_add_lshl_u32 v128, v97, v75, 2
	v_lshlrev_b32_e32 v75, 2, v76
	ds_load_b32 v76, v16
	global_wb scope:SCOPE_SE
	s_wait_dscnt 0x0
	s_barrier_signal -1
	s_barrier_wait -1
	global_inv scope:SCOPE_SE
	v_pk_add_f16 v80, v6, v12
	v_pk_add_f16 v81, v8, v62
	;; [unrolled: 1-line block ×3, first 2 shown]
	v_pk_add_f16 v6, v6, v12 neg_lo:[0,1] neg_hi:[0,1]
	v_pk_add_f16 v8, v8, v62 neg_lo:[0,1] neg_hi:[0,1]
	;; [unrolled: 1-line block ×3, first 2 shown]
	v_pk_add_f16 v12, v7, v63
	v_pk_add_f16 v62, v9, v11
	;; [unrolled: 1-line block ×3, first 2 shown]
	v_pk_add_f16 v7, v7, v63 neg_lo:[0,1] neg_hi:[0,1]
	v_pk_add_f16 v9, v9, v11 neg_lo:[0,1] neg_hi:[0,1]
	;; [unrolled: 1-line block ×3, first 2 shown]
	v_pk_add_f16 v61, v81, v80
	v_pk_add_f16 v63, v81, v80 neg_lo:[0,1] neg_hi:[0,1]
	v_pk_add_f16 v71, v80, v82 neg_lo:[0,1] neg_hi:[0,1]
	v_pk_add_f16 v80, v10, v8
	v_pk_add_f16 v83, v6, v10 neg_lo:[0,1] neg_hi:[0,1]
	v_pk_add_f16 v84, v8, v6 neg_lo:[0,1] neg_hi:[0,1]
	;; [unrolled: 1-line block ×3, first 2 shown]
	v_pk_add_f16 v10, v62, v12
	v_pk_add_f16 v86, v11, v9
	v_pk_add_f16 v87, v7, v11 neg_lo:[0,1] neg_hi:[0,1]
	v_pk_add_f16 v88, v9, v7 neg_lo:[0,1] neg_hi:[0,1]
	;; [unrolled: 1-line block ×3, first 2 shown]
	v_pk_add_f16 v11, v82, v61
	v_pk_add_f16 v85, v62, v12 neg_lo:[0,1] neg_hi:[0,1]
	v_pk_add_f16 v12, v12, v72 neg_lo:[0,1] neg_hi:[0,1]
	v_pk_add_f16 v6, v80, v6
	v_pk_mul_f16 v61, 0x3a52, v71 op_sel_hi:[0,1]
	v_pk_mul_f16 v71, 0x3574, v83 op_sel_hi:[0,1]
	;; [unrolled: 1-line block ×3, first 2 shown]
	v_pk_add_f16 v10, v72, v10
	v_pk_add_f16 v81, v82, v81 neg_lo:[0,1] neg_hi:[0,1]
	v_pk_mul_f16 v63, 0x39e0, v63 op_sel_hi:[0,1]
	v_pk_mul_f16 v82, 0x3574, v87 op_sel_hi:[0,1]
	;; [unrolled: 1-line block ×3, first 2 shown]
	v_pk_add_f16 v76, v76, v11
	v_pk_add_f16 v62, v72, v62 neg_lo:[0,1] neg_hi:[0,1]
	v_pk_mul_f16 v12, 0x3a52, v12 op_sel_hi:[0,1]
	v_pk_mul_f16 v72, 0x39e0, v85 op_sel_hi:[0,1]
	v_pk_fma_f16 v83, 0x3574, v83, v80 op_sel_hi:[0,1,1] neg_lo:[0,1,1] neg_hi:[0,1,1]
	v_pk_fma_f16 v80, 0xb846, v8, v80 op_sel_hi:[0,1,1] neg_lo:[0,1,0] neg_hi:[0,1,0]
	v_pk_fma_f16 v8, 0xb846, v8, v71 op_sel_hi:[0,1,1]
	v_pk_add_f16 v5, v5, v10
	v_pk_add_f16 v7, v86, v7
	v_pk_add_f16 v85, v61, v63 op_sel:[1,1] op_sel_hi:[0,0] neg_lo:[1,1] neg_hi:[1,1]
	v_pk_fma_f16 v63, 0x2b26, v81, v63 op_sel_hi:[0,1,1] neg_lo:[0,1,0] neg_hi:[0,1,0]
	v_pk_fma_f16 v61, 0x2b26, v81, v61 op_sel_hi:[0,1,1]
	v_pk_fma_f16 v81, 0x3574, v87, v84 op_sel_hi:[0,1,1] neg_lo:[0,1,1] neg_hi:[0,1,1]
	v_pk_fma_f16 v84, 0xb846, v9, v84 op_sel_hi:[0,1,1] neg_lo:[0,1,0] neg_hi:[0,1,0]
	v_pk_fma_f16 v9, 0xb846, v9, v82 op_sel_hi:[0,1,1]
	v_pk_fma_f16 v11, 0x3cab, v11, v76 op_sel_hi:[0,1,1] neg_lo:[0,1,0] neg_hi:[0,1,0]
	v_pk_add_f16 v71, v12, v72 op_sel:[1,1] op_sel_hi:[0,0] neg_lo:[1,1] neg_hi:[1,1]
	v_pk_fma_f16 v72, 0x2b26, v62, v72 op_sel_hi:[0,1,1] neg_lo:[0,1,0] neg_hi:[0,1,0]
	v_pk_fma_f16 v12, 0x2b26, v62, v12 op_sel_hi:[0,1,1]
	v_pk_fma_f16 v62, 0x370e, v6, v83 op_sel_hi:[0,1,1]
	;; [unrolled: 1-line block ×4, first 2 shown]
	v_pk_fma_f16 v8, 0x3cab, v10, v5 op_sel_hi:[0,1,1] neg_lo:[0,1,0] neg_hi:[0,1,0]
	v_pk_fma_f16 v10, 0x370e, v7, v81 op_sel_hi:[0,1,1]
	v_pk_fma_f16 v81, 0x370e, v7, v84 op_sel_hi:[0,1,1]
	;; [unrolled: 1-line block ×3, first 2 shown]
	v_pk_add_f16 v9, v85, v11 op_sel:[0,1] op_sel_hi:[1,0]
	v_pk_add_f16 v63, v63, v11
	v_pk_add_f16 v11, v61, v11
	v_pk_add_f16 v61, v71, v8 op_sel:[0,1] op_sel_hi:[1,0]
	v_pk_add_f16 v71, v72, v8
	v_pk_add_f16 v8, v12, v8
	;; [unrolled: 1-line block ×3, first 2 shown]
	v_pk_add_f16 v9, v9, v62 neg_lo:[0,1] neg_hi:[0,1]
	v_pk_add_f16 v72, v11, v6 op_sel:[0,1] op_sel_hi:[1,0]
	v_pk_add_f16 v6, v11, v6 op_sel:[0,1] op_sel_hi:[1,0] neg_lo:[0,1] neg_hi:[0,1]
	v_pk_add_f16 v62, v63, v80 op_sel:[0,1] op_sel_hi:[1,0] neg_lo:[0,1] neg_hi:[0,1]
	v_pk_add_f16 v63, v63, v80 op_sel:[0,1] op_sel_hi:[1,0]
	v_pk_add_f16 v11, v61, v10
	v_pk_add_f16 v10, v61, v10 neg_lo:[0,1] neg_hi:[0,1]
	v_pk_add_f16 v80, v8, v7 op_sel:[0,1] op_sel_hi:[1,0]
	v_pk_add_f16 v7, v8, v7 op_sel:[0,1] op_sel_hi:[1,0] neg_lo:[0,1] neg_hi:[0,1]
	v_pk_add_f16 v61, v71, v81 op_sel:[0,1] op_sel_hi:[1,0] neg_lo:[0,1] neg_hi:[0,1]
	v_pk_add_f16 v71, v71, v81 op_sel:[0,1] op_sel_hi:[1,0]
	v_alignbit_b32 v8, v9, v12, 16
	v_alignbit_b32 v9, v12, v9, 16
	v_bfi_b32 v12, 0xffff, v6, v72
	v_bfi_b32 v6, 0xffff, v72, v6
	;; [unrolled: 1-line block ×4, first 2 shown]
	v_alignbit_b32 v63, v10, v11, 16
	v_alignbit_b32 v10, v11, v10, 16
	v_bfi_b32 v11, 0xffff, v7, v80
	v_bfi_b32 v7, 0xffff, v80, v7
	v_bfi_b32 v72, 0xffff, v61, v71
	v_bfi_b32 v61, 0xffff, v71, v61
	ds_store_2addr_b32 v127, v76, v6 offset1:1
	ds_store_2addr_b32 v127, v8, v81 offset0:2 offset1:3
	ds_store_2addr_b32 v127, v62, v9 offset0:4 offset1:5
	ds_store_b32 v127, v12 offset:24
	ds_store_2addr_b32 v128, v5, v7 offset1:1
	ds_store_2addr_b32 v128, v63, v72 offset0:2 offset1:3
	ds_store_2addr_b32 v128, v61, v10 offset0:4 offset1:5
	ds_store_b32 v128, v11 offset:24
	v_add_co_u32 v5, s2, v119, -14
	global_wb scope:SCOPE_SE
	s_wait_dscnt 0x0
	s_barrier_signal -1
	s_barrier_wait -1
	global_inv scope:SCOPE_SE
	s_wait_alu 0xfffd
	v_cndmask_b32_e32 v5, v5, v119, vcc_lo
	v_lshlrev_b32_e32 v79, 2, v60
	s_clause 0x6
	global_load_b32 v8, v74, s[10:11]
	global_load_b32 v9, v75, s[10:11]
	;; [unrolled: 1-line block ×7, first 2 shown]
	s_wait_alu 0xf1ff
	v_add_co_ci_u32_e64 v6, null, 0, -1, s2
	v_lshrrev_b16 v71, 9, v64
	v_lshrrev_b16 v72, 9, v70
	;; [unrolled: 1-line block ×3, first 2 shown]
	s_delay_alu instid0(VALU_DEP_4)
	v_cndmask_b32_e64 v6, v6, 0, vcc_lo
	v_lshrrev_b16 v82, 11, v68
	v_lshrrev_b16 v83, 11, v57
	v_mul_lo_u16 v63, v72, 14
	v_mul_lo_u16 v64, v73, 14
	v_lshlrev_b64_e32 v[61:62], 2, v[5:6]
	v_mul_lo_u16 v6, v55, 14
	v_mul_lo_u16 v55, v56, 14
	;; [unrolled: 1-line block ×4, first 2 shown]
	v_sub_nc_u16 v85, v4, v63
	v_mul_lo_u16 v76, v82, 14
	v_and_b32_e32 v6, 0xffff, v6
	v_and_b32_e32 v21, 0xffff, v55
	v_sub_nc_u16 v84, v14, v58
	v_sub_nc_u16 v14, v65, v64
	v_and_b32_e32 v23, 0xff, v85
	v_mul_lo_u16 v77, v83, 14
	v_and_b32_e32 v55, 0xffff, v56
	v_and_b32_e32 v22, 0xff, v84
	v_sub_nc_u16 v56, v66, v76
	v_and_b32_e32 v86, 0xff, v14
	v_add_nc_u32_e32 v6, v6, v53
	v_add_nc_u32_e32 v14, v21, v54
	v_lshlrev_b32_e32 v89, 2, v22
	v_add_lshl_u32 v22, v97, v18, 2
	ds_load_2addr_b32 v[17:18], v50 offset0:112 offset1:128
	v_add_lshl_u32 v21, v97, v20, 2
	v_lshlrev_b32_e32 v90, 2, v23
	v_add_lshl_u32 v23, v97, v19, 2
	ds_load_2addr_b32 v[19:20], v50 offset0:144 offset1:160
	v_sub_nc_u16 v58, v67, v77
	ds_load_2addr_b32 v[76:77], v50 offset0:176 offset1:192
	v_and_b32_e32 v87, 0xff, v56
	v_mul_lo_u16 v56, v92, 14
	v_add_lshl_u32 v53, v97, v6, 2
	v_add_lshl_u32 v54, v97, v14, 2
	v_mad_u16 v6, v15, 14, v59
	ds_load_b32 v96, v50 offset:832
	ds_load_2addr_b32 v[14:15], v50 offset0:16 offset1:32
	v_sub_nc_u16 v95, v2, v56
	ds_load_b32 v98, v16
	ds_load_2addr_b32 v[78:79], v50 offset0:48 offset1:64
	v_and_b32_e32 v6, 0xff, v6
	ds_load_2addr_b32 v[80:81], v50 offset0:80 offset1:96
	v_and_b32_e32 v56, 0xff, v95
	v_add_co_u32 v74, vcc_lo, s10, v61
	s_wait_dscnt 0x7
	v_lshrrev_b32_e32 v100, 16, v18
	s_wait_alu 0xfffd
	v_add_co_ci_u32_e32 v75, vcc_lo, s11, v62, vcc_lo
	v_lshlrev_b32_e32 v99, 2, v56
	v_add_lshl_u32 v56, v97, v6, 2
	v_lshrrev_b32_e32 v6, 16, v17
	s_wait_dscnt 0x6
	v_lshrrev_b32_e32 v101, 16, v19
	v_lshrrev_b32_e32 v102, 16, v20
	s_wait_dscnt 0x5
	v_lshrrev_b32_e32 v103, 16, v76
	v_and_b32_e32 v88, 0xff, v58
	v_add_nc_u32_e32 v55, v55, v60
	v_lshrrev_b32_e32 v104, 16, v77
	s_wait_dscnt 0x4
	v_lshrrev_b32_e32 v105, 16, v96
	s_wait_dscnt 0x2
	v_lshrrev_b32_e32 v112, 16, v98
	v_lshrrev_b32_e32 v106, 16, v14
	;; [unrolled: 1-line block ×3, first 2 shown]
	s_wait_dscnt 0x1
	v_lshrrev_b32_e32 v108, 16, v78
	v_lshrrev_b32_e32 v109, 16, v79
	s_wait_dscnt 0x0
	v_lshrrev_b32_e32 v110, 16, v80
	v_lshrrev_b32_e32 v111, 16, v81
	v_lshlrev_b32_e32 v91, 2, v86
	v_lshlrev_b32_e32 v93, 2, v87
	;; [unrolled: 1-line block ×3, first 2 shown]
	v_add_lshl_u32 v55, v97, v55, 2
	global_wb scope:SCOPE_SE
	s_wait_loadcnt 0x0
	s_barrier_signal -1
	s_barrier_wait -1
	global_inv scope:SCOPE_SE
	v_cmp_lt_u32_e32 vcc_lo, 13, v119
	v_lshrrev_b16 v69, 12, v69
	s_delay_alu instid0(VALU_DEP_1) | instskip(NEXT) | instid1(VALU_DEP_1)
	v_mul_lo_u16 v69, v69, 28
	v_sub_nc_u16 v65, v65, v69
	v_mad_u16 v69, v72, 28, v85
	v_lshrrev_b32_e32 v64, 16, v8
	v_lshrrev_b32_e32 v63, 16, v9
	;; [unrolled: 1-line block ×7, first 2 shown]
	v_mul_f16_e32 v113, v6, v64
	v_mul_f16_e32 v115, v17, v64
	;; [unrolled: 1-line block ×13, first 2 shown]
	v_mul_f16_e64 v130, v96, v58
	v_fma_f16 v17, v17, v8, -v113
	v_fmac_f16_e32 v115, v6, v8
	v_fma_f16 v18, v18, v9, -v114
	v_fmac_f16_e32 v118, v100, v9
	;; [unrolled: 2-line block ×6, first 2 shown]
	v_fma_f16 v6, v96, v7, -v126
	v_fmac_f16_e64 v130, v105, v7
	v_sub_f16_e32 v17, v98, v17
	v_sub_f16_e32 v96, v112, v115
	;; [unrolled: 1-line block ×13, first 2 shown]
	v_sub_f16_e64 v105, v111, v130
	v_fma_f16 v98, v98, 2.0, -v17
	v_fma_f16 v112, v112, 2.0, -v96
	v_fma_f16 v14, v14, 2.0, -v18
	v_pack_b32_f16 v17, v17, v96
	v_fma_f16 v96, v106, 2.0, -v100
	v_fma_f16 v15, v15, 2.0, -v19
	v_pack_b32_f16 v18, v18, v100
	v_fma_f16 v100, v107, 2.0, -v101
	v_fma_f16 v78, v78, 2.0, -v20
	;; [unrolled: 3-line block ×4, first 2 shown]
	v_fma_f16 v81, v81, 2.0, -v6
	v_pack_b32_f16 v76, v76, v103
	v_fma_f16 v103, v110, 2.0, -v104
	v_pack_b32_f16 v77, v77, v104
	;; [unrolled: 2-line block ×3, first 2 shown]
	v_pack_b32_f16 v14, v14, v96
	v_pack_b32_f16 v15, v15, v100
	;; [unrolled: 1-line block ×7, first 2 shown]
	ds_store_2addr_b32 v21, v98, v17 offset1:7
	ds_store_2addr_b32 v56, v14, v18 offset1:7
	ds_store_2addr_b32 v22, v15, v19 offset1:7
	ds_store_2addr_b32 v23, v78, v20 offset1:7
	ds_store_2addr_b32 v53, v79, v76 offset1:7
	ds_store_2addr_b32 v54, v80, v77 offset1:7
	ds_store_2addr_b32 v55, v81, v6 offset1:7
	global_wb scope:SCOPE_SE
	s_wait_dscnt 0x0
	s_barrier_signal -1
	s_barrier_wait -1
	global_inv scope:SCOPE_SE
	s_clause 0x6
	global_load_b32 v20, v[74:75], off offset:28
	global_load_b32 v19, v99, s[10:11] offset:28
	global_load_b32 v18, v89, s[10:11] offset:28
	;; [unrolled: 1-line block ×6, first 2 shown]
	s_wait_alu 0xfffd
	v_cndmask_b32_e64 v74, 0, 28, vcc_lo
	v_lshrrev_b16 v81, 10, v70
	v_lshrrev_b16 v96, 12, v68
	;; [unrolled: 1-line block ×3, first 2 shown]
	v_add_co_u32 v75, s2, v119, -12
	v_add_nc_u32_e32 v5, v5, v74
	v_mul_lo_u16 v70, v81, 28
	s_delay_alu instid0(VALU_DEP_4)
	v_mul_lo_u16 v68, v68, 28
	v_mul_lo_u16 v74, v83, 28
	;; [unrolled: 1-line block ×3, first 2 shown]
	v_add_lshl_u32 v57, v97, v5, 2
	v_mul_lo_u16 v5, v73, 28
	v_mul_lo_u16 v73, v82, 28
	v_sub_nc_u16 v100, v4, v70
	v_cmp_gt_u64_e32 vcc_lo, 28, v[2:3]
	s_wait_alu 0xf1ff
	v_add_co_ci_u32_e64 v76, null, 0, -1, s2
	v_and_b32_e32 v5, 0xffff, v5
	v_and_b32_e32 v70, 0xffff, v73
	v_sub_nc_u16 v67, v67, v68
	v_mad_u16 v68, v71, 28, v84
	v_and_b32_e32 v71, 0xff, v100
	v_add_nc_u32_e32 v5, v5, v86
	v_and_b32_e32 v73, 0xffff, v74
	v_sub_nc_u16 v66, v66, v77
	v_and_b32_e32 v101, 0xff, v65
	v_and_b32_e32 v65, 0xff, v68
	v_add_nc_u32_e32 v68, v70, v87
	s_wait_alu 0xfffd
	v_cndmask_b32_e32 v86, v75, v2, vcc_lo
	v_cndmask_b32_e64 v87, v76, 0, vcc_lo
	v_and_b32_e32 v103, 0xff, v67
	v_lshlrev_b32_e32 v98, 2, v71
	v_add_lshl_u32 v67, v97, v5, 2
	v_mad_u16 v5, v92, 28, v95
	ds_load_2addr_b32 v[71:72], v50 offset0:112 offset1:128
	ds_load_b32 v95, v16
	v_and_b32_e32 v102, 0xff, v66
	v_and_b32_e32 v66, 0xff, v69
	v_add_nc_u32_e32 v69, v73, v88
	ds_load_2addr_b32 v[73:74], v50 offset0:16 offset1:32
	ds_load_2addr_b32 v[75:76], v50 offset0:144 offset1:160
	v_lshlrev_b64_e32 v[77:78], 2, v[86:87]
	ds_load_2addr_b32 v[87:88], v50 offset0:48 offset1:64
	ds_load_2addr_b32 v[89:90], v50 offset0:176 offset1:192
	;; [unrolled: 1-line block ×3, first 2 shown]
	ds_load_b32 v106, v50 offset:832
	v_and_b32_e32 v5, 0xff, v5
	v_add_lshl_u32 v65, v97, v65, 2
	v_add_lshl_u32 v66, v97, v66, 2
	v_lshlrev_b32_e32 v99, 2, v101
	v_add_co_u32 v93, vcc_lo, s10, v77
	v_add_lshl_u32 v70, v97, v5, 2
	s_wait_alu 0xfffd
	v_add_co_ci_u32_e32 v94, vcc_lo, s11, v78, vcc_lo
	v_lshlrev_b32_e32 v104, 2, v102
	v_lshlrev_b32_e32 v105, 2, v103
	v_add_lshl_u32 v68, v97, v68, 2
	s_wait_dscnt 0x7
	v_lshrrev_b32_e32 v5, 16, v71
	v_lshrrev_b32_e32 v107, 16, v72
	s_wait_dscnt 0x6
	v_lshrrev_b32_e32 v77, 16, v95
	v_add_lshl_u32 v69, v97, v69, 2
	s_wait_dscnt 0x5
	v_lshrrev_b32_e32 v108, 16, v73
	s_wait_dscnt 0x4
	v_lshrrev_b32_e32 v109, 16, v75
	v_lshrrev_b32_e32 v111, 16, v76
	s_wait_dscnt 0x2
	v_lshrrev_b32_e32 v113, 16, v89
	;; [unrolled: 3-line block ×3, first 2 shown]
	v_lshrrev_b32_e32 v110, 16, v74
	v_lshrrev_b32_e32 v112, 16, v87
	v_lshrrev_b32_e32 v114, 16, v88
	v_lshrrev_b32_e32 v116, 16, v91
	v_lshrrev_b32_e32 v118, 16, v92
	global_wb scope:SCOPE_SE
	s_wait_loadcnt 0x0
	s_barrier_signal -1
	s_barrier_wait -1
	global_inv scope:SCOPE_SE
	v_mad_u16 v81, v81, 56, v100
	v_lshrrev_b32_e32 v85, 16, v20
	v_lshrrev_b32_e32 v84, 16, v19
	;; [unrolled: 1-line block ×7, first 2 shown]
	v_mul_f16_e32 v120, v71, v85
	v_mul_f16_e32 v121, v5, v85
	;; [unrolled: 1-line block ×7, first 2 shown]
	v_mul_f16_e64 v130, v76, v82
	v_mul_f16_e64 v131, v89, v80
	;; [unrolled: 1-line block ×7, first 2 shown]
	v_fma_f16 v71, v71, v20, -v121
	v_fmac_f16_e32 v120, v5, v20
	v_fma_f16 v72, v72, v19, -v122
	v_fmac_f16_e32 v123, v107, v19
	;; [unrolled: 2-line block ×3, first 2 shown]
	v_fma_f16 v76, v76, v17, -v125
	v_fmac_f16_e64 v130, v111, v17
	v_fmac_f16_e64 v131, v113, v6
	v_fma_f16 v5, v89, v6, -v132
	v_fma_f16 v89, v90, v14, -v133
	v_fmac_f16_e64 v134, v115, v14
	v_fma_f16 v90, v106, v15, -v135
	v_fmac_f16_e64 v136, v117, v15
	v_sub_f16_e32 v71, v95, v71
	v_sub_f16_e32 v106, v77, v120
	;; [unrolled: 1-line block ×6, first 2 shown]
	v_sub_f16_e64 v111, v112, v130
	v_sub_f16_e32 v76, v87, v76
	v_sub_f16_e32 v5, v88, v5
	v_sub_f16_e64 v113, v114, v131
	v_sub_f16_e64 v115, v116, v134
	v_sub_f16_e32 v89, v91, v89
	v_sub_f16_e32 v90, v92, v90
	v_sub_f16_e64 v117, v118, v136
	v_fma_f16 v95, v95, 2.0, -v71
	v_fma_f16 v77, v77, 2.0, -v106
	v_pack_b32_f16 v71, v71, v106
	v_fma_f16 v106, v108, 2.0, -v107
	v_pack_b32_f16 v107, v72, v107
	v_fma_f16 v72, v73, 2.0, -v72
	v_fma_f16 v73, v74, 2.0, -v75
	;; [unrolled: 1-line block ×3, first 2 shown]
	v_pack_b32_f16 v75, v75, v109
	v_fma_f16 v108, v112, 2.0, -v111
	v_pack_b32_f16 v109, v76, v111
	v_fma_f16 v76, v87, 2.0, -v76
	v_fma_f16 v87, v88, 2.0, -v5
	;; [unrolled: 1-line block ×4, first 2 shown]
	v_pack_b32_f16 v111, v89, v115
	v_fma_f16 v89, v91, 2.0, -v89
	v_fma_f16 v91, v92, 2.0, -v90
	;; [unrolled: 1-line block ×3, first 2 shown]
	v_pack_b32_f16 v77, v95, v77
	v_pack_b32_f16 v72, v72, v106
	v_pack_b32_f16 v73, v73, v74
	v_pack_b32_f16 v74, v76, v108
	v_pack_b32_f16 v5, v5, v113
	v_pack_b32_f16 v76, v87, v88
	v_pack_b32_f16 v90, v90, v117
	v_pack_b32_f16 v87, v89, v110
	v_pack_b32_f16 v88, v91, v92
	ds_store_2addr_b32 v57, v77, v71 offset1:14
	ds_store_2addr_b32 v70, v72, v107 offset1:14
	ds_store_2addr_b32 v65, v73, v75 offset1:14
	ds_store_2addr_b32 v66, v74, v109 offset1:14
	ds_store_2addr_b32 v67, v76, v5 offset1:14
	ds_store_2addr_b32 v68, v87, v111 offset1:14
	ds_store_2addr_b32 v69, v88, v90 offset1:14
	global_wb scope:SCOPE_SE
	s_wait_dscnt 0x0
	s_barrier_signal -1
	s_barrier_wait -1
	global_inv scope:SCOPE_SE
	s_clause 0x6
	global_load_b32 v71, v129, s[10:11] offset:84
	global_load_b32 v72, v[93:94], off offset:84
	global_load_b32 v73, v129, s[10:11] offset:100
	global_load_b32 v74, v98, s[10:11] offset:84
	;; [unrolled: 1-line block ×5, first 2 shown]
	v_mov_b32_e32 v5, v3
	v_add_co_u32 v87, s2, v119, -8
	s_wait_alu 0xf1ff
	v_add_co_ci_u32_e64 v88, null, 0, -1, s2
	s_delay_alu instid0(VALU_DEP_3)
	v_cmp_gt_u64_e32 vcc_lo, 56, v[4:5]
	v_mul_lo_u16 v89, v96, 56
	v_and_b32_e32 v94, 0xff, v81
	v_add_lshl_u32 v81, v97, v101, 2
	s_add_nc_u64 s[2:3], s[8:9], 0x380
	s_wait_alu 0xfffd
	v_cndmask_b32_e32 v98, v87, v4, vcc_lo
	v_cndmask_b32_e64 v99, v88, 0, vcc_lo
	v_and_b32_e32 v91, 0xffff, v89
	v_add_lshl_u32 v95, v97, v94, 2
	s_delay_alu instid0(VALU_DEP_3) | instskip(NEXT) | instid1(VALU_DEP_3)
	v_lshlrev_b64_e32 v[87:88], 2, v[98:99]
	v_add_nc_u32_e32 v96, v91, v102
	s_delay_alu instid0(VALU_DEP_2) | instskip(SKIP_1) | instid1(VALU_DEP_3)
	v_add_co_u32 v89, vcc_lo, s10, v87
	s_wait_alu 0xfffd
	v_add_co_ci_u32_e32 v90, vcc_lo, s11, v88, vcc_lo
	ds_load_2addr_b32 v[87:88], v50 offset0:112 offset1:128
	ds_load_b32 v99, v16
	ds_load_2addr_b32 v[92:93], v50 offset0:144 offset1:160
	v_cmp_lt_u64_e32 vcc_lo, 27, v[2:3]
	ds_load_2addr_b32 v[2:3], v50 offset0:176 offset1:192
	ds_load_b32 v113, v50 offset:832
	ds_load_2addr_b32 v[107:108], v50 offset0:16 offset1:32
	ds_load_2addr_b32 v[109:110], v50 offset0:48 offset1:64
	;; [unrolled: 1-line block ×3, first 2 shown]
	v_add_lshl_u32 v94, v97, v96, 2
	s_wait_alu 0xfffd
	v_cndmask_b32_e64 v91, 0, 56, vcc_lo
	global_wb scope:SCOPE_SE
	s_wait_loadcnt_dscnt 0x0
	s_barrier_signal -1
	s_barrier_wait -1
	global_inv scope:SCOPE_SE
	v_add_nc_u32_e32 v86, v91, v86
	v_add_lshl_u32 v91, v97, v103, 2
	v_cmp_lt_u64_e32 vcc_lo, 55, v[4:5]
	s_delay_alu instid0(VALU_DEP_3)
	v_add_lshl_u32 v96, v97, v86, 2
	v_lshrrev_b32_e32 v86, 16, v87
	v_lshrrev_b32_e32 v115, 16, v88
	;; [unrolled: 1-line block ×21, first 2 shown]
	v_mul_f16_e64 v131, v87, v106
	v_mul_f16_e64 v132, v86, v106
	;; [unrolled: 1-line block ×14, first 2 shown]
	v_fma_f16 v87, v87, v71, -v132
	v_fmac_f16_e64 v131, v86, v71
	v_fma_f16 v88, v88, v72, -v133
	v_fmac_f16_e64 v134, v115, v72
	;; [unrolled: 2-line block ×7, first 2 shown]
	v_sub_f16_e32 v87, v99, v87
	v_sub_f16_e64 v113, v114, v131
	v_sub_f16_e64 v115, v122, v134
	v_sub_f16_e32 v88, v107, v88
	v_sub_f16_e32 v92, v108, v92
	v_sub_f16_e64 v116, v123, v135
	v_sub_f16_e64 v117, v124, v140
	v_sub_f16_e32 v93, v109, v93
	;; [unrolled: 4-line block ×3, first 2 shown]
	v_sub_f16_e32 v86, v112, v86
	v_sub_f16_e64 v121, v130, v144
	v_fma_f16 v99, v99, 2.0, -v87
	v_fma_f16 v114, v114, 2.0, -v113
	v_pack_b32_f16 v87, v87, v113
	v_fma_f16 v113, v122, 2.0, -v115
	v_pack_b32_f16 v115, v88, v115
	v_fma_f16 v88, v107, 2.0, -v88
	v_fma_f16 v107, v108, 2.0, -v92
	v_fma_f16 v108, v123, 2.0, -v116
	v_pack_b32_f16 v92, v92, v116
	v_fma_f16 v116, v124, 2.0, -v117
	v_pack_b32_f16 v117, v93, v117
	v_fma_f16 v93, v109, 2.0, -v93
	;; [unrolled: 6-line block ×3, first 2 shown]
	v_fma_f16 v111, v112, 2.0, -v86
	v_fma_f16 v112, v130, 2.0, -v121
	v_pack_b32_f16 v99, v99, v114
	v_pack_b32_f16 v88, v88, v113
	;; [unrolled: 1-line block ×8, first 2 shown]
	ds_store_2addr_b32 v16, v99, v87 offset1:28
	ds_store_2addr_b32 v96, v88, v115 offset1:28
	ds_store_2addr_b32 v16, v107, v92 offset0:60 offset1:88
	ds_store_2addr_b32 v95, v93, v117 offset1:28
	ds_store_2addr_b32 v81, v108, v2 offset0:112 offset1:140
	;; [unrolled: 2-line block ×3, first 2 shown]
	global_wb scope:SCOPE_SE
	s_wait_dscnt 0x0
	s_barrier_signal -1
	s_barrier_wait -1
	global_inv scope:SCOPE_SE
	s_clause 0x6
	global_load_b32 v86, v129, s[10:11] offset:196
	global_load_b32 v87, v129, s[10:11] offset:260
	global_load_b32 v88, v[89:90], off offset:196
	global_load_b32 v89, v129, s[10:11] offset:356
	global_load_b32 v92, v129, s[10:11] offset:324
	;; [unrolled: 1-line block ×4, first 2 shown]
	ds_load_2addr_b32 v[2:3], v50 offset0:112 offset1:128
	ds_load_2addr_b32 v[107:108], v50 offset0:144 offset1:160
	;; [unrolled: 1-line block ×3, first 2 shown]
	ds_load_b32 v109, v50 offset:832
	ds_load_b32 v124, v16
	ds_load_2addr_b32 v[117:118], v50 offset0:16 offset1:32
	s_wait_alu 0xfffd
	v_cndmask_b32_e64 v99, 0, 0x70, vcc_lo
	ds_load_2addr_b32 v[120:121], v50 offset0:48 offset1:64
	ds_load_2addr_b32 v[122:123], v50 offset0:80 offset1:96
	global_wb scope:SCOPE_SE
	s_wait_loadcnt_dscnt 0x0
	s_barrier_signal -1
	s_barrier_wait -1
	v_add_nc_u32_e32 v98, v99, v98
	global_inv scope:SCOPE_SE
	v_add_lshl_u32 v99, v97, v98, 2
	v_lshrrev_b32_e32 v130, 16, v4
	v_lshrrev_b32_e32 v97, 16, v2
	;; [unrolled: 1-line block ×21, first 2 shown]
	v_mul_f16_e64 v140, v2, v116
	v_mul_f16_e64 v141, v97, v116
	;; [unrolled: 1-line block ×14, first 2 shown]
	v_fma_f16 v2, v2, v86, -v141
	v_fmac_f16_e64 v140, v97, v86
	v_fma_f16 v3, v3, v87, -v142
	v_fma_f16 v107, v107, v92, -v144
	v_fmac_f16_e64 v143, v98, v87
	v_fmac_f16_e64 v146, v125, v92
	v_fma_f16 v108, v108, v88, -v145
	v_fma_f16 v4, v4, v93, -v148
	;; [unrolled: 1-line block ×3, first 2 shown]
	v_fmac_f16_e64 v147, v126, v88
	v_fmac_f16_e64 v150, v130, v93
	v_fmac_f16_e64 v151, v131, v90
	v_fma_f16 v97, v109, v89, -v152
	v_fmac_f16_e64 v153, v132, v89
	v_sub_f16_e32 v2, v124, v2
	v_sub_f16_e64 v98, v133, v140
	v_sub_f16_e32 v3, v117, v3
	v_sub_f16_e32 v107, v118, v107
	v_sub_f16_e64 v109, v134, v143
	v_sub_f16_e64 v125, v135, v146
	;; [unrolled: 1-line block ×3, first 2 shown]
	v_sub_f16_e32 v108, v120, v108
	v_sub_f16_e32 v4, v121, v4
	;; [unrolled: 1-line block ×4, first 2 shown]
	v_sub_f16_e64 v130, v137, v150
	v_sub_f16_e64 v131, v138, v151
	;; [unrolled: 1-line block ×3, first 2 shown]
	v_fma_f16 v124, v124, 2.0, -v2
	v_fma_f16 v133, v133, 2.0, -v98
	v_pack_b32_f16 v2, v2, v98
	v_fma_f16 v98, v117, 2.0, -v3
	v_fma_f16 v117, v118, 2.0, -v107
	;; [unrolled: 1-line block ×3, first 2 shown]
	v_pack_b32_f16 v3, v3, v109
	v_fma_f16 v109, v135, 2.0, -v125
	v_pack_b32_f16 v107, v107, v125
	v_fma_f16 v125, v136, 2.0, -v126
	;; [unrolled: 2-line block ×3, first 2 shown]
	v_fma_f16 v120, v121, 2.0, -v4
	v_fma_f16 v121, v122, 2.0, -v5
	;; [unrolled: 1-line block ×4, first 2 shown]
	v_pack_b32_f16 v4, v4, v130
	v_fma_f16 v130, v138, 2.0, -v131
	v_pack_b32_f16 v5, v5, v131
	v_fma_f16 v131, v139, 2.0, -v132
	v_pack_b32_f16 v124, v124, v133
	v_pack_b32_f16 v98, v98, v118
	;; [unrolled: 1-line block ×8, first 2 shown]
	ds_store_2addr_b32 v16, v124, v2 offset1:56
	ds_store_b32 v50, v98 offset:64
	ds_store_b32 v16, v3 offset:288
	;; [unrolled: 1-line block ×4, first 2 shown]
	ds_store_2addr_b32 v99, v108, v126 offset1:56
	ds_store_2addr_b32 v16, v117, v118 offset0:120 offset1:136
	ds_store_2addr_b32 v16, v120, v4 offset0:152 offset1:176
	;; [unrolled: 1-line block ×3, first 2 shown]
	global_wb scope:SCOPE_SE
	s_wait_dscnt 0x0
	s_barrier_signal -1
	s_barrier_wait -1
	global_inv scope:SCOPE_SE
	s_clause 0x6
	global_load_b32 v97, v129, s[10:11] offset:420
	global_load_b32 v98, v129, s[10:11] offset:484
	;; [unrolled: 1-line block ×7, first 2 shown]
	ds_load_2addr_b32 v[2:3], v50 offset0:112 offset1:128
	ds_load_b32 v138, v16
	ds_load_2addr_b32 v[4:5], v50 offset0:16 offset1:32
	ds_load_2addr_b32 v[130:131], v50 offset0:144 offset1:160
	ds_load_2addr_b32 v[132:133], v50 offset0:48 offset1:64
	ds_load_2addr_b32 v[134:135], v50 offset0:176 offset1:192
	ds_load_b32 v139, v50 offset:832
	ds_load_2addr_b32 v[136:137], v50 offset0:80 offset1:96
	s_wait_dscnt 0x7
	v_lshrrev_b32_e32 v140, 16, v2
	v_lshrrev_b32_e32 v142, 16, v3
	s_wait_dscnt 0x6
	v_lshrrev_b32_e32 v141, 16, v138
	s_wait_dscnt 0x4
	v_lshrrev_b32_e32 v144, 16, v130
	v_lshrrev_b32_e32 v146, 16, v131
	s_wait_dscnt 0x2
	v_lshrrev_b32_e32 v148, 16, v134
	;; [unrolled: 3-line block ×3, first 2 shown]
	v_lshrrev_b32_e32 v143, 16, v4
	v_lshrrev_b32_e32 v145, 16, v5
	;; [unrolled: 1-line block ×4, first 2 shown]
	s_wait_dscnt 0x0
	v_lshrrev_b32_e32 v152, 16, v136
	v_lshrrev_b32_e32 v153, 16, v137
	s_wait_loadcnt 0x6
	v_lshrrev_b32_e32 v126, 16, v97
	s_wait_loadcnt 0x5
	;; [unrolled: 2-line block ×5, first 2 shown]
	v_lshrrev_b32_e32 v122, 16, v109
	v_mul_f16_e64 v154, v140, v126
	v_mul_f16_e64 v156, v142, v125
	s_wait_loadcnt 0x1
	v_lshrrev_b32_e32 v121, 16, v117
	s_wait_loadcnt 0x0
	v_lshrrev_b32_e32 v120, 16, v118
	v_mul_f16_e64 v155, v2, v126
	v_mul_f16_e64 v157, v3, v125
	;; [unrolled: 1-line block ×6, first 2 shown]
	v_fma_f16 v2, v2, v97, -v154
	v_fma_f16 v3, v3, v98, -v156
	v_mul_f16_e64 v154, v134, v122
	v_mul_f16_e64 v156, v148, v122
	v_fma_f16 v130, v130, v107, -v159
	v_fma_f16 v131, v131, v108, -v160
	v_mul_f16_e64 v159, v150, v121
	v_mul_f16_e64 v160, v135, v121
	v_fmac_f16_e64 v155, v140, v97
	v_mul_f16_e64 v140, v151, v120
	v_fmac_f16_e64 v157, v142, v98
	;; [unrolled: 2-line block ×3, first 2 shown]
	v_fmac_f16_e64 v161, v146, v108
	v_fmac_f16_e64 v154, v148, v109
	v_fma_f16 v134, v134, v109, -v156
	v_fma_f16 v135, v135, v117, -v159
	v_fmac_f16_e64 v160, v150, v117
	v_fma_f16 v139, v139, v118, -v140
	v_fmac_f16_e64 v142, v151, v118
	v_sub_f16_e64 v2, v138, v2
	v_sub_f16_e64 v140, v141, v155
	v_sub_f16_e32 v3, v4, v3
	v_sub_f16_e64 v144, v143, v157
	v_sub_f16_e64 v130, v5, v130
	v_sub_f16_e64 v146, v145, v158
	v_sub_f16_e64 v131, v132, v131
	v_sub_f16_e64 v148, v147, v161
	v_sub_f16_e64 v134, v133, v134
	v_sub_f16_e64 v150, v149, v154
	v_sub_f16_e64 v151, v152, v160
	v_sub_f16_e64 v135, v136, v135
	v_sub_f16_e64 v139, v137, v139
	v_sub_f16_e64 v142, v153, v142
	v_fma_f16 v138, v138, 2.0, -v2
	v_fma_f16 v141, v141, 2.0, -v140
	v_pack_b32_f16 v2, v2, v140
	v_pack_b32_f16 v140, v3, v144
	v_fma_f16 v143, v143, 2.0, -v144
	v_fma_f16 v3, v4, 2.0, -v3
	;; [unrolled: 1-line block ×4, first 2 shown]
	v_pack_b32_f16 v144, v131, v148
	v_fma_f16 v145, v147, 2.0, -v148
	v_fma_f16 v131, v132, 2.0, -v131
	;; [unrolled: 1-line block ×4, first 2 shown]
	v_pack_b32_f16 v130, v130, v146
	v_fma_f16 v146, v152, 2.0, -v151
	v_pack_b32_f16 v147, v135, v151
	v_fma_f16 v135, v136, 2.0, -v135
	v_fma_f16 v136, v137, 2.0, -v139
	;; [unrolled: 1-line block ×3, first 2 shown]
	v_pack_b32_f16 v138, v138, v141
	v_pack_b32_f16 v3, v3, v143
	;; [unrolled: 1-line block ×9, first 2 shown]
	ds_store_b32 v16, v138
	ds_store_2addr_b32 v50, v2, v140 offset0:112 offset1:128
	ds_store_2addr_b32 v50, v3, v4 offset0:16 offset1:32
	ds_store_2addr_b32 v50, v130, v144 offset0:144 offset1:160
	ds_store_2addr_b32 v50, v5, v131 offset0:48 offset1:64
	ds_store_2addr_b32 v50, v134, v147 offset0:176 offset1:192
	ds_store_2addr_b32 v50, v132, v133 offset0:80 offset1:96
	ds_store_b32 v50, v139 offset:832
	global_wb scope:SCOPE_SE
	s_wait_dscnt 0x0
	s_barrier_signal -1
	s_barrier_wait -1
	global_inv scope:SCOPE_SE
	s_clause 0xd
	global_load_b32 v2, v129, s[8:9] offset:896
	global_load_b32 v132, v129, s[2:3] offset:448
	;; [unrolled: 1-line block ×14, first 2 shown]
	ds_load_b32 v3, v16
	s_lshl_b64 s[2:3], s[4:5], 7
	s_wait_dscnt 0x0
	v_lshrrev_b32_e32 v4, 16, v3
	s_wait_loadcnt 0xc
	v_lshrrev_b32_e32 v155, 16, v132
	s_wait_loadcnt 0xb
	;; [unrolled: 2-line block ×9, first 2 shown]
	v_lshrrev_b32_e32 v156, 16, v133
	v_lshrrev_b32_e32 v5, 16, v2
	s_wait_loadcnt 0x1
	v_lshrrev_b32_e32 v158, 16, v139
	s_delay_alu instid0(VALU_DEP_2) | instskip(SKIP_1) | instid1(VALU_DEP_2)
	v_mul_f16_e64 v142, v4, v5
	v_mul_f16_e32 v5, v3, v5
	v_fma_f16 v3, v3, v2, -v142
	s_delay_alu instid0(VALU_DEP_2) | instskip(NEXT) | instid1(VALU_DEP_1)
	v_fmac_f16_e32 v5, v4, v2
	v_pack_b32_f16 v2, v3, v5
	ds_store_b32 v16, v2
	ds_load_2addr_b32 v[4:5], v50 offset0:16 offset1:32
	ds_load_2addr_b32 v[142:143], v50 offset0:48 offset1:64
	;; [unrolled: 1-line block ×4, first 2 shown]
	v_mad_co_u64_u32 v[2:3], null, s4, v119, 0
	s_wait_dscnt 0x3
	v_lshrrev_b32_e32 v157, 16, v5
	v_lshrrev_b32_e32 v159, 16, v4
	v_mul_f16_e64 v160, v5, v148
	v_mul_f16_e64 v161, v4, v149
	s_wait_dscnt 0x2
	v_mul_f16_e64 v162, v142, v151
	v_mul_f16_e64 v148, v157, v148
	;; [unrolled: 1-line block ×3, first 2 shown]
	v_fmac_f16_e64 v160, v157, v141
	v_lshrrev_b32_e32 v157, 16, v143
	v_fmac_f16_e64 v161, v159, v140
	v_fma_f16 v141, v5, v141, -v148
	v_mul_f16_e64 v148, v143, v150
	v_fma_f16 v149, v4, v140, -v149
	v_lshrrev_b32_e32 v4, 16, v142
	s_wait_dscnt 0x1
	v_lshrrev_b32_e32 v5, 16, v145
	v_mul_f16_e64 v140, v145, v152
	v_mul_f16_e64 v150, v157, v150
	v_fmac_f16_e64 v148, v157, v138
	v_lshrrev_b32_e32 v157, 16, v144
	v_mul_f16_e64 v151, v4, v151
	v_fmac_f16_e64 v162, v4, v137
	v_mul_f16_e64 v152, v5, v152
	v_fmac_f16_e64 v140, v5, v136
	ds_load_2addr_b32 v[4:5], v50 offset0:144 offset1:160
	v_fma_f16 v142, v142, v137, -v151
	v_mul_f16_e64 v151, v157, v153
	v_mul_f16_e64 v153, v144, v153
	v_fma_f16 v143, v143, v138, -v150
	ds_load_2addr_b32 v[137:138], v50 offset0:176 offset1:192
	v_fma_f16 v136, v145, v136, -v152
	s_wait_dscnt 0x2
	v_lshrrev_b32_e32 v145, 16, v147
	v_fmac_f16_e64 v153, v157, v135
	ds_load_b32 v157, v50 offset:832
	v_fma_f16 v144, v144, v135, -v151
	v_mul_f16_e64 v151, v147, v154
	v_lshrrev_b32_e32 v152, 16, v146
	v_mul_f16_e64 v154, v145, v154
	s_wait_loadcnt 0x0
	v_lshrrev_b32_e32 v150, 16, v129
	v_lshrrev_b32_e32 v135, 16, v131
	v_fmac_f16_e64 v151, v145, v134
	v_mul_f16_e64 v145, v152, v155
	v_mul_f16_e64 v155, v146, v155
	v_fma_f16 v134, v147, v134, -v154
	s_wait_dscnt 0x2
	v_lshrrev_b32_e32 v147, 16, v5
	v_lshrrev_b32_e32 v154, 16, v4
	v_fma_f16 v145, v146, v132, -v145
	v_mul_f16_e64 v146, v5, v156
	v_fmac_f16_e64 v155, v152, v132
	v_mul_f16_e64 v152, v147, v156
	v_mul_f16_e64 v156, v4, v158
	;; [unrolled: 1-line block ×3, first 2 shown]
	v_lshrrev_b32_e32 v132, 16, v130
	v_fmac_f16_e64 v146, v147, v133
	s_wait_dscnt 0x1
	v_lshrrev_b32_e32 v147, 16, v138
	v_fmac_f16_e64 v156, v154, v139
	v_fma_f16 v4, v4, v139, -v158
	s_wait_dscnt 0x0
	v_lshrrev_b32_e32 v139, 16, v157
	v_fma_f16 v5, v5, v133, -v152
	v_lshrrev_b32_e32 v152, 16, v137
	v_mul_f16_e64 v133, v138, v150
	v_mul_f16_e64 v154, v157, v132
	;; [unrolled: 1-line block ×6, first 2 shown]
	v_fmac_f16_e64 v133, v147, v129
	v_fmac_f16_e64 v154, v139, v130
	v_fma_f16 v129, v138, v129, -v150
	v_fma_f16 v130, v157, v130, -v132
	v_fmac_f16_e64 v158, v152, v131
	v_fma_f16 v131, v137, v131, -v135
	v_pack_b32_f16 v132, v141, v160
	v_pack_b32_f16 v135, v149, v161
	;; [unrolled: 1-line block ×13, first 2 shown]
	ds_store_2addr_b32 v50, v135, v132 offset0:16 offset1:32
	ds_store_2addr_b32 v50, v138, v137 offset0:48 offset1:64
	;; [unrolled: 1-line block ×6, first 2 shown]
	ds_store_b32 v50, v130 offset:832
	global_wb scope:SCOPE_SE
	s_wait_dscnt 0x0
	s_barrier_signal -1
	s_barrier_wait -1
	global_inv scope:SCOPE_SE
	ds_load_2addr_b32 v[4:5], v50 offset0:48 offset1:64
	ds_load_b32 v140, v50 offset:832
	ds_load_2addr_b32 v[129:130], v50 offset0:144 offset1:160
	s_wait_dscnt 0x2
	v_mad_co_u64_u32 v[131:132], null, s5, v119, v[3:4]
	ds_load_2addr_b32 v[132:133], v50 offset0:112 offset1:128
	ds_load_2addr_b32 v[134:135], v50 offset0:80 offset1:96
	;; [unrolled: 1-line block ×4, first 2 shown]
	ds_load_b32 v119, v16
	global_wb scope:SCOPE_SE
	s_wait_dscnt 0x0
	s_barrier_signal -1
	s_barrier_wait -1
	global_inv scope:SCOPE_SE
	v_mov_b32_e32 v3, v131
	v_pk_add_f16 v131, v4, v140
	v_pk_add_f16 v4, v4, v140 neg_lo:[0,1] neg_hi:[0,1]
	v_pk_add_f16 v140, v5, v130
	v_pk_add_f16 v5, v5, v130 neg_lo:[0,1] neg_hi:[0,1]
	v_lshlrev_b64_e32 v[2:3], 2, v[2:3]
	v_pk_add_f16 v130, v132, v129
	v_pk_add_f16 v129, v129, v132 neg_lo:[0,1] neg_hi:[0,1]
	v_pk_add_f16 v132, v135, v133
	v_pk_add_f16 v141, v139, v137
	v_pk_add_f16 v133, v133, v135 neg_lo:[0,1] neg_hi:[0,1]
	v_pk_add_f16 v135, v134, v136
	v_pk_add_f16 v134, v134, v136 neg_lo:[0,1] neg_hi:[0,1]
	v_pk_add_f16 v136, v139, v137 neg_lo:[0,1] neg_hi:[0,1]
	v_pk_add_f16 v137, v140, v141
	v_pk_add_f16 v139, v141, v132 neg_lo:[0,1] neg_hi:[0,1]
	v_pk_add_f16 v142, v132, v140 neg_lo:[0,1] neg_hi:[0,1]
	;; [unrolled: 1-line block ×3, first 2 shown]
	v_pk_add_f16 v141, v135, v131
	v_pk_add_f16 v143, v133, v5
	v_pk_add_f16 v144, v136, v133 neg_lo:[0,1] neg_hi:[0,1]
	v_pk_add_f16 v133, v133, v5 neg_lo:[0,1] neg_hi:[0,1]
	v_pk_add_f16 v5, v5, v136 neg_lo:[0,1] neg_hi:[0,1]
	v_pk_add_f16 v146, v129, v134
	v_pk_add_f16 v147, v129, v134 neg_lo:[0,1] neg_hi:[0,1]
	v_pk_add_f16 v134, v134, v4 neg_lo:[0,1] neg_hi:[0,1]
	v_pk_add_f16 v129, v4, v129 neg_lo:[0,1] neg_hi:[0,1]
	;; [unrolled: 4-line block ×3, first 2 shown]
	v_pk_add_f16 v130, v130, v141
	v_pk_mul_f16 v137, 0xb574, v144 op_sel_hi:[0,1]
	v_pk_mul_f16 v139, 0x3a52, v139 op_sel_hi:[0,1]
	;; [unrolled: 1-line block ×6, first 2 shown]
	v_pk_add_f16 v119, v119, v132
	v_pk_add_f16 v136, v143, v136
	v_pk_mul_f16 v143, 0x3a52, v145 op_sel_hi:[0,1]
	v_pk_mul_f16 v131, 0x39e0, v131 op_sel_hi:[0,1]
	v_pk_add_f16 v138, v138, v130
	v_pk_add_f16 v4, v146, v4
	v_pk_fma_f16 v137, 0x3846, v133, v137 op_sel_hi:[0,1,1]
	v_pk_fma_f16 v145, 0x2b26, v142, v139 op_sel_hi:[0,1,1]
	v_pk_fma_f16 v144, 0xb574, v144, v5 op_sel_hi:[0,1,1] neg_lo:[0,1,1] neg_hi:[0,1,1]
	v_pk_fma_f16 v5, 0x3846, v133, v5 op_sel_hi:[0,1,1] neg_lo:[0,1,0] neg_hi:[0,1,0]
	;; [unrolled: 1-line block ×3, first 2 shown]
	v_pk_add_f16 v139, v139, v140 op_sel:[1,1] op_sel_hi:[0,0] neg_lo:[1,1] neg_hi:[1,1]
	v_pk_fma_f16 v140, 0x3846, v147, v141 op_sel_hi:[0,1,1]
	v_pk_fma_f16 v129, 0xb574, v129, v134 op_sel_hi:[0,1,1] neg_lo:[0,1,1] neg_hi:[0,1,1]
	v_pk_fma_f16 v134, 0x3846, v147, v134 op_sel_hi:[0,1,1] neg_lo:[0,1,0] neg_hi:[0,1,0]
	;; [unrolled: 1-line block ×3, first 2 shown]
	v_pk_fma_f16 v141, 0x2b26, v135, v143 op_sel_hi:[0,1,1]
	v_pk_fma_f16 v135, 0x2b26, v135, v131 op_sel_hi:[0,1,1] neg_lo:[0,1,0] neg_hi:[0,1,0]
	v_pk_add_f16 v131, v143, v131 op_sel:[1,1] op_sel_hi:[0,0] neg_lo:[1,1] neg_hi:[1,1]
	v_pk_fma_f16 v130, 0x3cab, v130, v138 op_sel_hi:[0,1,1] neg_lo:[0,1,0] neg_hi:[0,1,0]
	v_pk_fma_f16 v137, 0xb70e, v136, v137 op_sel_hi:[0,1,1]
	v_pk_fma_f16 v142, 0xb70e, v136, v144 op_sel_hi:[0,1,1]
	;; [unrolled: 1-line block ×6, first 2 shown]
	v_pk_add_f16 v134, v145, v132
	v_pk_add_f16 v133, v133, v132
	v_pk_add_f16 v132, v139, v132 op_sel:[0,1] op_sel_hi:[1,0]
	v_pk_add_f16 v135, v135, v130
	v_pk_add_f16 v131, v131, v130 op_sel:[0,1] op_sel_hi:[1,0]
	;; [unrolled: 2-line block ×3, first 2 shown]
	v_pk_add_f16 v134, v134, v137 op_sel:[0,1] op_sel_hi:[1,0] neg_lo:[0,1] neg_hi:[0,1]
	v_pk_add_f16 v137, v133, v5 op_sel:[0,1] op_sel_hi:[1,0] neg_lo:[0,1] neg_hi:[0,1]
	v_pk_add_f16 v5, v133, v5 op_sel:[0,1] op_sel_hi:[1,0]
	v_pk_add_f16 v133, v132, v142
	v_pk_add_f16 v132, v132, v142 neg_lo:[0,1] neg_hi:[0,1]
	v_pk_add_f16 v140, v135, v4 op_sel:[0,1] op_sel_hi:[1,0] neg_lo:[0,1] neg_hi:[0,1]
	v_pk_add_f16 v4, v135, v4 op_sel:[0,1] op_sel_hi:[1,0]
	v_pk_add_f16 v135, v131, v129
	v_pk_add_f16 v129, v131, v129 neg_lo:[0,1] neg_hi:[0,1]
	v_pk_add_f16 v131, v130, v136 op_sel:[0,1] op_sel_hi:[1,0]
	v_pk_add_f16 v130, v130, v136 op_sel:[0,1] op_sel_hi:[1,0] neg_lo:[0,1] neg_hi:[0,1]
	v_bfi_b32 v136, 0xffff, v139, v134
	v_bfi_b32 v141, 0xffff, v137, v5
	v_alignbit_b32 v142, v132, v133, 16
	v_bfi_b32 v5, 0xffff, v5, v137
	v_alignbit_b32 v132, v133, v132, 16
	v_bfi_b32 v133, 0xffff, v134, v139
	v_bfi_b32 v134, 0xffff, v140, v4
	;; [unrolled: 1-line block ×3, first 2 shown]
	v_alignbit_b32 v137, v129, v135, 16
	v_alignbit_b32 v129, v135, v129, 16
	v_bfi_b32 v135, 0xffff, v131, v130
	v_bfi_b32 v130, 0xffff, v130, v131
	ds_store_2addr_b32 v127, v119, v136 offset1:1
	ds_store_2addr_b32 v127, v142, v141 offset0:2 offset1:3
	ds_store_2addr_b32 v127, v5, v132 offset0:4 offset1:5
	ds_store_b32 v127, v133 offset:24
	ds_store_2addr_b32 v128, v138, v135 offset1:1
	ds_store_2addr_b32 v128, v137, v134 offset0:2 offset1:3
	ds_store_2addr_b32 v128, v4, v129 offset0:4 offset1:5
	ds_store_b32 v128, v130 offset:24
	global_wb scope:SCOPE_SE
	s_wait_dscnt 0x0
	s_barrier_signal -1
	s_barrier_wait -1
	global_inv scope:SCOPE_SE
	ds_load_2addr_b32 v[4:5], v50 offset0:112 offset1:128
	ds_load_2addr_b32 v[127:128], v50 offset0:144 offset1:160
	;; [unrolled: 1-line block ×3, first 2 shown]
	v_add_co_u32 v119, vcc_lo, s0, v0
	s_wait_alu 0xfffd
	v_add_co_ci_u32_e32 v135, vcc_lo, s1, v1, vcc_lo
	ds_load_b32 v136, v50 offset:832
	ds_load_b32 v137, v16
	ds_load_2addr_b32 v[0:1], v50 offset0:16 offset1:32
	ds_load_2addr_b32 v[131:132], v50 offset0:48 offset1:64
	;; [unrolled: 1-line block ×3, first 2 shown]
	global_wb scope:SCOPE_SE
	s_wait_dscnt 0x0
	s_barrier_signal -1
	s_barrier_wait -1
	global_inv scope:SCOPE_SE
	s_mul_i32 s0, s5, 0xfffffd40
	s_wait_alu 0xfffe
	s_sub_co_i32 s0, s0, s4
	v_lshrrev_b32_e32 v138, 16, v4
	v_lshrrev_b32_e32 v140, 16, v5
	;; [unrolled: 1-line block ×5, first 2 shown]
	v_mul_f16_e64 v139, v64, v4
	v_lshrrev_b32_e32 v147, 16, v130
	v_lshrrev_b32_e32 v150, 16, v136
	v_mul_f16_e64 v64, v64, v138
	v_mul_f16_e64 v141, v63, v5
	;; [unrolled: 1-line block ×11, first 2 shown]
	v_lshrrev_b32_e32 v152, 16, v137
	v_fma_f16 v138, v8, v138, -v139
	v_mul_f16_e64 v60, v60, v147
	v_mul_f16_e64 v58, v58, v150
	v_fmac_f16_e32 v64, v8, v4
	v_lshrrev_b32_e32 v153, 16, v0
	v_fma_f16 v139, v9, v140, -v141
	v_fmac_f16_e32 v63, v9, v5
	v_lshrrev_b32_e32 v154, 16, v1
	v_fma_f16 v140, v10, v142, -v143
	;; [unrolled: 3-line block ×3, first 2 shown]
	v_fmac_f16_e64 v61, v11, v128
	v_lshrrev_b32_e32 v156, 16, v132
	v_fma_f16 v142, v12, v146, -v148
	v_fmac_f16_e64 v59, v12, v129
	v_lshrrev_b32_e32 v157, 16, v133
	v_lshrrev_b32_e32 v158, 16, v134
	v_fma_f16 v143, v13, v147, -v149
	v_fma_f16 v144, v7, v150, -v151
	v_fmac_f16_e64 v60, v13, v130
	v_sub_f16_e64 v4, v152, v138
	v_fmac_f16_e64 v58, v7, v136
	v_sub_f16_e64 v12, v137, v64
	v_sub_f16_e64 v5, v153, v139
	v_sub_f16_e32 v63, v0, v63
	v_sub_f16_e64 v7, v154, v140
	v_sub_f16_e32 v62, v1, v62
	v_sub_f16_e64 v8, v155, v141
	v_sub_f16_e64 v61, v131, v61
	;; [unrolled: 1-line block ×6, first 2 shown]
	v_fma_f16 v13, v152, 2.0, -v4
	v_sub_f16_e64 v60, v133, v60
	v_sub_f16_e64 v58, v134, v58
	v_fma_f16 v137, v137, 2.0, -v12
	v_fma_f16 v64, v153, 2.0, -v5
	;; [unrolled: 1-line block ×6, first 2 shown]
	v_pack_b32_f16 v4, v12, v4
	v_fma_f16 v12, v131, 2.0, -v61
	v_fma_f16 v129, v156, 2.0, -v9
	v_pack_b32_f16 v8, v61, v8
	v_fma_f16 v61, v132, 2.0, -v59
	v_fma_f16 v130, v157, 2.0, -v10
	;; [unrolled: 1-line block ×3, first 2 shown]
	v_pack_b32_f16 v9, v59, v9
	v_pack_b32_f16 v10, v60, v10
	v_fma_f16 v59, v133, 2.0, -v60
	v_fma_f16 v60, v134, 2.0, -v58
	v_pack_b32_f16 v13, v137, v13
	v_pack_b32_f16 v5, v63, v5
	;; [unrolled: 1-line block ×10, first 2 shown]
	ds_store_2addr_b32 v21, v13, v4 offset1:7
	ds_store_2addr_b32 v56, v0, v5 offset1:7
	;; [unrolled: 1-line block ×7, first 2 shown]
	global_wb scope:SCOPE_SE
	s_wait_dscnt 0x0
	s_barrier_signal -1
	s_barrier_wait -1
	global_inv scope:SCOPE_SE
	ds_load_2addr_b32 v[4:5], v50 offset0:112 offset1:128
	ds_load_b32 v13, v16
	ds_load_2addr_b32 v[7:8], v50 offset0:16 offset1:32
	ds_load_2addr_b32 v[9:10], v50 offset0:144 offset1:160
	;; [unrolled: 1-line block ×4, first 2 shown]
	ds_load_b32 v23, v50 offset:832
	ds_load_2addr_b32 v[53:54], v50 offset0:80 offset1:96
	v_add_co_u32 v0, vcc_lo, v119, v2
	s_wait_alu 0xfffd
	v_add_co_ci_u32_e32 v1, vcc_lo, v135, v3, vcc_lo
	global_wb scope:SCOPE_SE
	s_wait_dscnt 0x0
	s_barrier_signal -1
	s_barrier_wait -1
	global_inv scope:SCOPE_SE
	v_add_co_u32 v2, vcc_lo, v0, s2
	s_wait_alu 0xfffd
	v_add_co_ci_u32_e32 v3, vcc_lo, s3, v1, vcc_lo
	v_lshrrev_b32_e32 v55, 16, v4
	v_mul_f16_e32 v56, v85, v4
	v_lshrrev_b32_e32 v59, 16, v5
	v_mul_f16_e32 v60, v84, v5
	;; [unrolled: 2-line block ×3, first 2 shown]
	v_lshrrev_b32_e32 v119, 16, v10
	v_lshrrev_b32_e32 v129, 16, v21
	;; [unrolled: 1-line block ×4, first 2 shown]
	v_mul_f16_e32 v85, v85, v55
	v_fma_f16 v55, v20, v55, -v56
	v_mul_f16_e32 v56, v84, v59
	v_fma_f16 v59, v19, v59, -v60
	v_mul_f16_e32 v60, v83, v62
	v_mul_f16_e32 v127, v82, v10
	v_fma_f16 v62, v18, v62, -v63
	v_mul_f16_e32 v63, v82, v119
	v_mul_f16_e64 v130, v80, v21
	v_mul_f16_e64 v80, v80, v129
	v_lshrrev_b32_e32 v58, 16, v13
	v_mul_f16_e64 v132, v79, v22
	v_mul_f16_e64 v134, v78, v23
	;; [unrolled: 1-line block ×4, first 2 shown]
	v_fmac_f16_e32 v85, v20, v4
	v_lshrrev_b32_e32 v61, 16, v7
	v_fmac_f16_e32 v56, v19, v5
	v_lshrrev_b32_e32 v64, 16, v8
	v_fmac_f16_e32 v60, v18, v9
	v_lshrrev_b32_e32 v128, 16, v11
	v_fma_f16 v82, v17, v119, -v127
	v_fmac_f16_e32 v63, v17, v10
	v_lshrrev_b32_e32 v135, 16, v12
	v_fma_f16 v83, v6, v129, -v130
	v_fmac_f16_e32 v80, v6, v21
	v_lshrrev_b32_e32 v136, 16, v53
	v_lshrrev_b32_e32 v137, 16, v54
	v_fma_f16 v84, v14, v131, -v132
	v_fma_f16 v119, v15, v133, -v134
	v_sub_f16_e32 v4, v58, v55
	v_fmac_f16_e32 v79, v14, v22
	v_fmac_f16_e32 v78, v15, v23
	v_sub_f16_e32 v17, v13, v85
	v_sub_f16_e32 v5, v61, v59
	;; [unrolled: 1-line block ×5, first 2 shown]
	v_sub_f16_e64 v10, v128, v82
	v_sub_f16_e32 v23, v11, v63
	v_sub_f16_e64 v6, v135, v83
	v_sub_f16_e32 v56, v12, v80
	v_sub_f16_e64 v14, v136, v84
	v_sub_f16_e64 v15, v137, v119
	v_fma_f16 v18, v58, 2.0, -v4
	v_sub_f16_e32 v58, v53, v79
	v_sub_f16_e32 v59, v54, v78
	v_fma_f16 v13, v13, 2.0, -v17
	v_fma_f16 v20, v61, 2.0, -v5
	;; [unrolled: 1-line block ×11, first 2 shown]
	v_pack_b32_f16 v4, v17, v4
	v_pack_b32_f16 v5, v19, v5
	v_fma_f16 v17, v53, 2.0, -v58
	v_fma_f16 v19, v54, 2.0, -v59
	v_pack_b32_f16 v13, v13, v18
	v_pack_b32_f16 v7, v7, v20
	;; [unrolled: 1-line block ×12, first 2 shown]
	ds_store_2addr_b32 v57, v13, v4 offset1:14
	ds_store_2addr_b32 v70, v7, v5 offset1:14
	;; [unrolled: 1-line block ×7, first 2 shown]
	global_wb scope:SCOPE_SE
	s_wait_dscnt 0x0
	s_barrier_signal -1
	s_barrier_wait -1
	global_inv scope:SCOPE_SE
	ds_load_2addr_b32 v[8:9], v50 offset0:112 offset1:128
	ds_load_2addr_b32 v[10:11], v50 offset0:144 offset1:160
	;; [unrolled: 1-line block ×4, first 2 shown]
	ds_load_b32 v21, v50 offset:832
	ds_load_2addr_b32 v[17:18], v50 offset0:48 offset1:64
	ds_load_2addr_b32 v[19:20], v50 offset0:80 offset1:96
	ds_load_b32 v22, v16
	global_wb scope:SCOPE_SE
	s_wait_dscnt 0x0
	s_barrier_signal -1
	s_barrier_wait -1
	global_inv scope:SCOPE_SE
	v_add_co_u32 v4, vcc_lo, v2, s2
	s_wait_alu 0xfffd
	v_add_co_ci_u32_e32 v5, vcc_lo, s3, v3, vcc_lo
	s_delay_alu instid0(VALU_DEP_2) | instskip(SKIP_1) | instid1(VALU_DEP_2)
	v_add_co_u32 v6, vcc_lo, v4, s2
	s_wait_alu 0xfffd
	v_add_co_ci_u32_e32 v7, vcc_lo, s3, v5, vcc_lo
	v_lshrrev_b32_e32 v66, 16, v14
	v_lshrrev_b32_e32 v23, 16, v8
	v_mul_f16_e32 v53, v106, v8
	v_lshrrev_b32_e32 v54, 16, v9
	v_mul_f16_e32 v55, v105, v9
	;; [unrolled: 2-line block ×3, first 2 shown]
	v_lshrrev_b32_e32 v58, 16, v11
	v_lshrrev_b32_e32 v59, 16, v12
	v_mul_f16_e32 v60, v103, v11
	v_mul_f16_e32 v61, v102, v12
	v_lshrrev_b32_e32 v62, 16, v13
	v_mul_f16_e32 v63, v101, v13
	v_lshrrev_b32_e32 v64, 16, v21
	v_mul_f16_e32 v80, v106, v23
	v_fma_f16 v23, v71, v23, -v53
	v_mul_f16_e32 v53, v105, v54
	v_fma_f16 v54, v72, v54, -v55
	;; [unrolled: 2-line block ×3, first 2 shown]
	v_mul_f16_e32 v57, v103, v58
	v_mul_f16_e32 v65, v100, v21
	v_fma_f16 v58, v74, v58, -v60
	v_mul_f16_e32 v60, v102, v59
	v_fma_f16 v59, v75, v59, -v61
	;; [unrolled: 2-line block ×3, first 2 shown]
	v_mul_f16_e32 v63, v100, v64
	v_lshrrev_b32_e32 v68, 16, v17
	v_lshrrev_b32_e32 v79, 16, v22
	v_fmac_f16_e32 v80, v71, v8
	v_fmac_f16_e32 v53, v72, v9
	v_lshrrev_b32_e32 v67, 16, v15
	v_fmac_f16_e32 v55, v73, v10
	v_fmac_f16_e32 v57, v74, v11
	v_lshrrev_b32_e32 v69, 16, v18
	v_lshrrev_b32_e32 v70, 16, v19
	;; [unrolled: 1-line block ×3, first 2 shown]
	v_fma_f16 v64, v77, v64, -v65
	v_fmac_f16_e32 v60, v75, v12
	v_fmac_f16_e32 v61, v76, v13
	;; [unrolled: 1-line block ×3, first 2 shown]
	v_sub_f16_e32 v8, v79, v23
	v_sub_f16_e32 v11, v68, v58
	;; [unrolled: 1-line block ×14, first 2 shown]
	v_fma_f16 v59, v79, 2.0, -v8
	v_fma_f16 v22, v22, 2.0, -v58
	;; [unrolled: 1-line block ×14, first 2 shown]
	v_pack_b32_f16 v8, v58, v8
	v_pack_b32_f16 v22, v22, v59
	;; [unrolled: 1-line block ×14, first 2 shown]
	ds_store_2addr_b32 v16, v22, v8 offset1:28
	ds_store_2addr_b32 v96, v14, v9 offset1:28
	ds_store_2addr_b32 v16, v15, v10 offset0:60 offset1:88
	ds_store_2addr_b32 v95, v17, v11 offset1:28
	ds_store_2addr_b32 v81, v18, v12 offset0:112 offset1:140
	;; [unrolled: 2-line block ×3, first 2 shown]
	global_wb scope:SCOPE_SE
	s_wait_dscnt 0x0
	s_barrier_signal -1
	s_barrier_wait -1
	global_inv scope:SCOPE_SE
	ds_load_b32 v23, v16
	ds_load_2addr_b32 v[12:13], v50 offset0:112 offset1:128
	ds_load_2addr_b32 v[14:15], v50 offset0:16 offset1:32
	;; [unrolled: 1-line block ×6, first 2 shown]
	ds_load_b32 v55, v50 offset:832
	global_wb scope:SCOPE_SE
	s_wait_dscnt 0x0
	s_barrier_signal -1
	s_barrier_wait -1
	global_inv scope:SCOPE_SE
	v_add_co_u32 v8, vcc_lo, v6, s2
	s_wait_alu 0xfffd
	v_add_co_ci_u32_e32 v9, vcc_lo, s3, v7, vcc_lo
	s_delay_alu instid0(VALU_DEP_2) | instskip(SKIP_1) | instid1(VALU_DEP_2)
	v_add_co_u32 v10, vcc_lo, v8, s2
	s_wait_alu 0xfffd
	v_add_co_ci_u32_e32 v11, vcc_lo, s3, v9, vcc_lo
	v_lshrrev_b32_e32 v56, 16, v23
	v_lshrrev_b32_e32 v57, 16, v12
	;; [unrolled: 1-line block ×3, first 2 shown]
	v_mul_f16_e32 v63, v116, v12
	v_lshrrev_b32_e32 v61, 16, v17
	v_mul_f16_e32 v68, v115, v13
	v_lshrrev_b32_e32 v64, 16, v18
	v_lshrrev_b32_e32 v66, 16, v21
	v_mul_f16_e32 v71, v114, v17
	v_mul_f16_e32 v72, v113, v18
	v_lshrrev_b32_e32 v69, 16, v22
	v_lshrrev_b32_e32 v70, 16, v55
	v_mul_f16_e32 v73, v112, v21
	v_mul_f16_e32 v74, v111, v22
	;; [unrolled: 1-line block ×3, first 2 shown]
	v_fma_f16 v57, v86, v57, -v63
	v_mul_f16_e32 v63, v115, v59
	v_fma_f16 v59, v87, v59, -v68
	v_mul_f16_e32 v68, v114, v61
	;; [unrolled: 2-line block ×4, first 2 shown]
	v_mul_f16_e32 v75, v110, v55
	v_fma_f16 v66, v93, v66, -v73
	v_mul_f16_e32 v73, v111, v69
	v_fma_f16 v69, v90, v69, -v74
	v_mul_f16_e32 v74, v110, v70
	v_fmac_f16_e32 v77, v86, v12
	v_lshrrev_b32_e32 v58, 16, v14
	v_fmac_f16_e32 v63, v87, v13
	v_lshrrev_b32_e32 v60, 16, v15
	;; [unrolled: 2-line block ×3, first 2 shown]
	v_lshrrev_b32_e32 v65, 16, v20
	v_fmac_f16_e32 v71, v88, v18
	v_fmac_f16_e32 v72, v93, v21
	v_lshrrev_b32_e32 v67, 16, v53
	v_lshrrev_b32_e32 v76, 16, v54
	v_fma_f16 v70, v89, v70, -v75
	v_fmac_f16_e32 v73, v90, v22
	v_fmac_f16_e32 v74, v89, v55
	v_sub_f16_e32 v12, v56, v57
	v_sub_f16_e32 v57, v23, v77
	v_sub_f16_e32 v13, v58, v59
	v_sub_f16_e32 v59, v14, v63
	v_sub_f16_e32 v17, v60, v61
	v_sub_f16_e32 v61, v15, v68
	v_sub_f16_e32 v18, v62, v64
	v_sub_f16_e32 v21, v65, v66
	v_sub_f16_e32 v63, v19, v71
	v_sub_f16_e32 v64, v20, v72
	v_sub_f16_e32 v22, v67, v69
	v_sub_f16_e32 v55, v76, v70
	v_fma_f16 v56, v56, 2.0, -v12
	v_sub_f16_e32 v66, v53, v73
	v_sub_f16_e32 v68, v54, v74
	v_fma_f16 v23, v23, 2.0, -v57
	v_fma_f16 v58, v58, 2.0, -v13
	;; [unrolled: 1-line block ×13, first 2 shown]
	v_pack_b32_f16 v12, v57, v12
	v_pack_b32_f16 v23, v23, v56
	v_pack_b32_f16 v14, v14, v58
	v_pack_b32_f16 v13, v59, v13
	v_pack_b32_f16 v15, v15, v60
	v_pack_b32_f16 v17, v61, v17
	v_pack_b32_f16 v18, v63, v18
	v_pack_b32_f16 v19, v19, v62
	v_pack_b32_f16 v20, v20, v65
	v_pack_b32_f16 v21, v64, v21
	v_pack_b32_f16 v22, v66, v22
	v_pack_b32_f16 v55, v68, v55
	v_pack_b32_f16 v53, v53, v67
	v_pack_b32_f16 v54, v54, v69
	ds_store_2addr_b32 v16, v23, v12 offset1:56
	ds_store_b32 v50, v14 offset:64
	ds_store_b32 v16, v13 offset:288
	;; [unrolled: 1-line block ×4, first 2 shown]
	ds_store_2addr_b32 v99, v19, v18 offset1:56
	ds_store_2addr_b32 v16, v20, v53 offset0:120 offset1:136
	ds_store_2addr_b32 v16, v54, v21 offset0:152 offset1:176
	;; [unrolled: 1-line block ×3, first 2 shown]
	global_wb scope:SCOPE_SE
	s_wait_dscnt 0x0
	s_barrier_signal -1
	s_barrier_wait -1
	global_inv scope:SCOPE_SE
	ds_load_b32 v23, v16
	ds_load_2addr_b32 v[17:18], v50 offset0:112 offset1:128
	ds_load_2addr_b32 v[19:20], v50 offset0:16 offset1:32
	;; [unrolled: 1-line block ×6, first 2 shown]
	ds_load_b32 v59, v50 offset:832
	v_add_co_u32 v12, vcc_lo, v10, s2
	s_wait_alu 0xfffd
	v_add_co_ci_u32_e32 v13, vcc_lo, s3, v11, vcc_lo
	s_delay_alu instid0(VALU_DEP_1)
	v_mad_co_u64_u32 v[14:15], null, 0xfffffd40, s4, v[12:13]
	s_wait_dscnt 0x4
	v_lshrrev_b32_e32 v65, 16, v21
	v_lshrrev_b32_e32 v61, 16, v17
	;; [unrolled: 1-line block ×3, first 2 shown]
	v_mul_f16_e32 v74, v126, v17
	v_mul_f16_e32 v75, v125, v18
	v_lshrrev_b32_e32 v67, 16, v22
	s_wait_dscnt 0x2
	v_lshrrev_b32_e32 v69, 16, v55
	v_mul_f16_e32 v76, v124, v21
	v_mul_f16_e32 v77, v123, v22
	v_lshrrev_b32_e32 v71, 16, v56
	s_wait_dscnt 0x0
	v_lshrrev_b32_e32 v73, 16, v59
	v_mul_f16_e32 v78, v122, v55
	v_mul_f16_e32 v79, v121, v56
	;; [unrolled: 1-line block ×3, first 2 shown]
	v_fma_f16 v61, v97, v61, -v74
	v_mul_f16_e32 v74, v125, v63
	v_fma_f16 v63, v98, v63, -v75
	v_mul_f16_e32 v75, v124, v65
	;; [unrolled: 2-line block ×4, first 2 shown]
	v_lshrrev_b32_e32 v60, 16, v23
	v_mul_f16_e32 v80, v120, v59
	v_fma_f16 v69, v109, v69, -v78
	v_mul_f16_e32 v78, v121, v71
	v_fma_f16 v71, v117, v71, -v79
	v_mul_f16_e32 v79, v120, v73
	v_fmac_f16_e32 v81, v97, v17
	v_lshrrev_b32_e32 v62, 16, v19
	v_lshrrev_b32_e32 v64, 16, v20
	v_fmac_f16_e32 v74, v98, v18
	v_fmac_f16_e32 v75, v107, v21
	v_lshrrev_b32_e32 v66, 16, v53
	v_lshrrev_b32_e32 v68, 16, v54
	v_fmac_f16_e32 v76, v108, v22
	v_fmac_f16_e32 v77, v109, v55
	v_lshrrev_b32_e32 v70, 16, v57
	v_lshrrev_b32_e32 v72, 16, v58
	v_fma_f16 v73, v118, v73, -v80
	v_fmac_f16_e32 v78, v117, v56
	v_fmac_f16_e32 v79, v118, v59
	v_sub_f16_e32 v17, v60, v61
	v_sub_f16_e32 v61, v23, v81
	;; [unrolled: 1-line block ×12, first 2 shown]
	v_fma_f16 v60, v60, 2.0, -v17
	v_sub_f16_e32 v71, v57, v78
	v_sub_f16_e32 v73, v58, v79
	v_fma_f16 v23, v23, 2.0, -v61
	v_fma_f16 v62, v62, 2.0, -v18
	;; [unrolled: 1-line block ×13, first 2 shown]
	v_pack_b32_f16 v23, v23, v60
	v_pack_b32_f16 v17, v61, v17
	;; [unrolled: 1-line block ×14, first 2 shown]
	ds_store_b32 v16, v23
	ds_store_2addr_b32 v50, v17, v18 offset0:112 offset1:128
	ds_store_2addr_b32 v50, v19, v20 offset0:16 offset1:32
	;; [unrolled: 1-line block ×6, first 2 shown]
	ds_store_b32 v50, v59 offset:832
	global_wb scope:SCOPE_SE
	s_wait_dscnt 0x0
	s_barrier_signal -1
	s_barrier_wait -1
	global_inv scope:SCOPE_SE
	ds_load_b32 v53, v16
	ds_load_2addr_b32 v[22:23], v50 offset0:16 offset1:32
	ds_load_2addr_b32 v[54:55], v50 offset0:48 offset1:64
	;; [unrolled: 1-line block ×6, first 2 shown]
	ds_load_b32 v50, v50 offset:832
	s_wait_alu 0xfffe
	v_add_nc_u32_e32 v15, s0, v15
	s_mov_b32 s0, 0x92492492
	s_mov_b32 s1, 0x3f724924
	v_add_co_u32 v16, vcc_lo, v14, s2
	s_wait_alu 0xfffd
	v_add_co_ci_u32_e32 v17, vcc_lo, s3, v15, vcc_lo
	s_delay_alu instid0(VALU_DEP_2) | instskip(SKIP_1) | instid1(VALU_DEP_2)
	v_add_co_u32 v18, vcc_lo, v16, s2
	s_wait_alu 0xfffd
	v_add_co_ci_u32_e32 v19, vcc_lo, s3, v17, vcc_lo
	s_delay_alu instid0(VALU_DEP_2)
	v_add_co_u32 v20, vcc_lo, v18, s2
	s_wait_dscnt 0x7
	v_lshrrev_b32_e32 v64, 16, v53
	s_wait_dscnt 0x6
	v_lshrrev_b32_e32 v66, 16, v23
	v_mul_f16_e32 v67, v51, v23
	v_mul_f16_e32 v65, v52, v53
	s_wait_dscnt 0x5
	v_lshrrev_b32_e32 v68, 16, v55
	v_mul_f16_e32 v69, v38, v55
	s_wait_dscnt 0x4
	v_lshrrev_b32_e32 v70, 16, v57
	;; [unrolled: 3-line block ×5, first 2 shown]
	v_mul_f16_e32 v77, v42, v63
	v_lshrrev_b32_e32 v78, 16, v22
	v_mul_f16_e32 v79, v43, v22
	v_lshrrev_b32_e32 v80, 16, v54
	;; [unrolled: 2-line block ×5, first 2 shown]
	v_mul_f16_e32 v87, v47, v60
	s_wait_dscnt 0x0
	v_lshrrev_b32_e32 v90, 16, v50
	v_mul_f16_e32 v91, v49, v50
	v_fma_f16 v67, v33, v66, -v67
	v_lshrrev_b32_e32 v88, 16, v62
	v_mul_f16_e32 v89, v48, v62
	v_mul_f16_e32 v52, v52, v64
	v_fma_f16 v64, v25, v64, -v65
	v_mul_f16_e32 v51, v51, v66
	v_fma_f16 v65, v31, v68, -v69
	v_fma_f16 v66, v29, v70, -v71
	;; [unrolled: 1-line block ×11, first 2 shown]
	v_mul_f16_e32 v68, v38, v68
	v_mul_f16_e32 v70, v39, v70
	v_mul_f16_e32 v72, v40, v72
	v_mul_f16_e32 v74, v41, v74
	v_mul_f16_e32 v76, v42, v76
	v_mul_f16_e32 v78, v43, v78
	v_mul_f16_e32 v80, v44, v80
	v_mul_f16_e32 v82, v45, v82
	v_mul_f16_e32 v84, v46, v84
	v_mul_f16_e32 v86, v47, v86
	v_cvt_f32_f16_e32 v38, v67
	v_fma_f16 v85, v34, v88, -v89
	v_mul_f16_e32 v48, v48, v88
	v_mul_f16_e32 v49, v49, v90
	v_cvt_f32_f16_e32 v39, v65
	v_cvt_f32_f16_e32 v40, v66
	;; [unrolled: 1-line block ×7, first 2 shown]
	v_fmac_f16_e32 v52, v25, v53
	v_cvt_f32_f16_e32 v53, v83
	v_fmac_f16_e32 v51, v33, v23
	v_cvt_f32_f16_e32 v66, v87
	v_fmac_f16_e32 v68, v31, v55
	v_fmac_f16_e32 v70, v29, v57
	;; [unrolled: 1-line block ×10, first 2 shown]
	v_cvt_f64_f32_e32 v[22:23], v38
	v_cvt_f32_f16_e32 v44, v75
	v_cvt_f32_f16_e32 v45, v77
	;; [unrolled: 1-line block ×3, first 2 shown]
	v_fmac_f16_e32 v48, v34, v62
	v_fmac_f16_e32 v49, v32, v50
	v_cvt_f32_f16_e32 v50, v64
	v_cvt_f64_f32_e32 v[24:25], v39
	v_cvt_f64_f32_e32 v[26:27], v40
	;; [unrolled: 1-line block ×8, first 2 shown]
	v_cvt_f32_f16_e32 v52, v52
	v_cvt_f32_f16_e32 v53, v51
	v_cvt_f64_f32_e32 v[46:47], v66
	v_cvt_f32_f16_e32 v54, v68
	v_cvt_f32_f16_e32 v56, v70
	;; [unrolled: 1-line block ×10, first 2 shown]
	v_cvt_f64_f32_e32 v[34:35], v44
	v_cvt_f64_f32_e32 v[36:37], v45
	;; [unrolled: 1-line block ×3, first 2 shown]
	v_cvt_f32_f16_e32 v74, v48
	v_cvt_f32_f16_e32 v76, v49
	v_cvt_f64_f32_e32 v[48:49], v50
	v_cvt_f64_f32_e32 v[50:51], v52
	;; [unrolled: 1-line block ×15, first 2 shown]
	s_wait_alu 0xfffe
	v_mul_f64_e32 v[78:79], s[0:1], v[22:23]
	v_mul_f64_e32 v[80:81], s[0:1], v[24:25]
	;; [unrolled: 1-line block ×8, first 2 shown]
	s_wait_alu 0xfffd
	v_add_co_ci_u32_e32 v21, vcc_lo, s3, v19, vcc_lo
	v_add_co_u32 v22, vcc_lo, v20, s2
	v_mul_f64_e32 v[88:89], s[0:1], v[38:39]
	s_wait_alu 0xfffd
	s_delay_alu instid0(VALU_DEP_3) | instskip(NEXT) | instid1(VALU_DEP_3)
	v_add_co_ci_u32_e32 v23, vcc_lo, s3, v21, vcc_lo
	v_add_co_u32 v24, vcc_lo, v22, s2
	v_mul_f64_e32 v[84:85], s[0:1], v[34:35]
	v_mul_f64_e32 v[86:87], s[0:1], v[36:37]
	;; [unrolled: 1-line block ×4, first 2 shown]
	s_wait_alu 0xfffd
	v_add_co_ci_u32_e32 v25, vcc_lo, s3, v23, vcc_lo
	v_mul_f64_e32 v[34:35], s[0:1], v[48:49]
	v_mul_f64_e32 v[47:48], s[0:1], v[50:51]
	;; [unrolled: 1-line block ×15, first 2 shown]
	v_and_or_b32 v75, 0x1ff, v79, v78
	v_add_co_u32 v26, vcc_lo, v24, s2
	s_wait_alu 0xfffd
	v_add_co_ci_u32_e32 v27, vcc_lo, s3, v25, vcc_lo
	v_and_or_b32 v78, 0x1ff, v81, v80
	v_cmp_ne_u32_e32 vcc_lo, 0, v75
	v_and_or_b32 v82, 0x1ff, v83, v82
	v_and_or_b32 v95, 0x1ff, v29, v28
	;; [unrolled: 1-line block ×7, first 2 shown]
	v_lshrrev_b32_e32 v76, 8, v79
	v_bfe_u32 v77, v79, 20, 11
	v_lshrrev_b32_e32 v40, 16, v79
	v_and_or_b32 v84, 0x1ff, v85, v84
	v_and_or_b32 v86, 0x1ff, v87, v86
	;; [unrolled: 1-line block ×4, first 2 shown]
	v_bfe_u32 v105, v85, 20, 11
	v_lshrrev_b32_e32 v119, 8, v46
	v_and_or_b32 v121, 0x1ff, v35, v34
	v_and_or_b32 v79, 0x1ff, v48, v47
	;; [unrolled: 1-line block ×3, first 2 shown]
	v_bfe_u32 v103, v33, 20, 11
	v_and_or_b32 v139, 0x1ff, v54, v53
	v_lshrrev_b32_e32 v140, 8, v54
	v_bfe_u32 v141, v54, 20, 11
	v_lshrrev_b32_e32 v45, 16, v54
	v_and_or_b32 v142, 0x1ff, v56, v55
	v_bfe_u32 v107, v87, 20, 11
	v_sub_nc_u32_e32 v125, 0x3f1, v105
	v_and_or_b32 v136, 0x1ff, v52, v51
	v_and_or_b32 v163, 0x1ff, v70, v69
	v_lshrrev_b32_e32 v164, 8, v70
	v_bfe_u32 v165, v70, 20, 11
	v_lshrrev_b32_e32 v53, 16, v70
	s_wait_alu 0xfffd
	v_cndmask_b32_e64 v70, 0, 1, vcc_lo
	v_cmp_ne_u32_e32 vcc_lo, 0, v78
	v_and_or_b32 v71, 0x1ff, v72, v71
	v_lshrrev_b32_e32 v166, 8, v72
	v_bfe_u32 v167, v72, 20, 11
	v_lshrrev_b32_e32 v54, 16, v72
	s_wait_alu 0xfffd
	v_cndmask_b32_e64 v72, 0, 1, vcc_lo
	v_cmp_ne_u32_e32 vcc_lo, 0, v82
	;; [unrolled: 7-line block ×3, first 2 shown]
	v_bfe_u32 v109, v89, 20, 11
	v_sub_nc_u32_e32 v124, 0x3f1, v103
	v_sub_nc_u32_e32 v126, 0x3f1, v107
	v_and_or_b32 v154, 0x1ff, v64, v63
	s_wait_alu 0xfffd
	v_cndmask_b32_e64 v75, 0, 1, vcc_lo
	v_cmp_ne_u32_e32 vcc_lo, 0, v98
	v_add_nc_u32_e32 v63, 0xfffffc10, v103
	v_med3_i32 v103, v125, 0, 13
	v_bfe_u32 v111, v91, 20, 11
	v_sub_nc_u32_e32 v127, 0x3f1, v109
	s_wait_alu 0xfffd
	v_cndmask_b32_e64 v78, 0, 1, vcc_lo
	v_cmp_ne_u32_e32 vcc_lo, 0, v101
	v_and_or_b32 v151, 0x1ff, v62, v61
	v_lshrrev_b32_e32 v152, 8, v62
	v_bfe_u32 v153, v62, 20, 11
	v_lshrrev_b32_e32 v49, 16, v62
	s_wait_alu 0xfffd
	v_cndmask_b32_e64 v82, 0, 1, vcc_lo
	v_cmp_ne_u32_e32 vcc_lo, 0, v84
	v_add_nc_u32_e32 v62, 0xfffffc10, v105
	v_med3_i32 v105, v126, 0, 13
	v_bfe_u32 v114, v42, 20, 11
	v_sub_nc_u32_e32 v128, 0x3f1, v111
	s_wait_alu 0xfffd
	v_cndmask_b32_e64 v84, 0, 1, vcc_lo
	v_cmp_ne_u32_e32 vcc_lo, 0, v86
	v_and_or_b32 v145, 0x1ff, v58, v57
	v_add_nc_u32_e32 v61, 0xfffffc10, v107
	v_med3_i32 v107, v127, 0, 13
	v_lshrrev_b32_e32 v104, 8, v85
	s_wait_alu 0xfffd
	v_cndmask_b32_e64 v86, 0, 1, vcc_lo
	v_cmp_ne_u32_e32 vcc_lo, 0, v88
	v_lshrrev_b32_e32 v113, 8, v42
	v_bfe_u32 v117, v44, 20, 11
	v_lshrrev_b32_e32 v34, 16, v85
	v_lshrrev_b32_e32 v30, 16, v42
	s_wait_alu 0xfffd
	v_cndmask_b32_e64 v88, 0, 1, vcc_lo
	v_cmp_ne_u32_e32 vcc_lo, 0, v90
	v_lshrrev_b32_e32 v85, 8, v48
	v_sub_nc_u32_e32 v129, 0x3f1, v114
	v_bfe_u32 v132, v48, 20, 11
	v_and_or_b32 v148, 0x1ff, v60, v59
	s_wait_alu 0xfffd
	v_cndmask_b32_e64 v90, 0, 1, vcc_lo
	v_cmp_ne_u32_e32 vcc_lo, 0, v112
	v_lshrrev_b32_e32 v149, 8, v60
	v_bfe_u32 v150, v60, 20, 11
	v_lshrrev_b32_e32 v42, 16, v48
	v_lshrrev_b32_e32 v48, 16, v60
	s_wait_alu 0xfffd
	v_cndmask_b32_e64 v95, 0, 1, vcc_lo
	v_cmp_ne_u32_e32 vcc_lo, 0, v115
	v_add_nc_u32_e32 v60, 0xfffffc10, v109
	v_med3_i32 v109, v128, 0, 13
	v_bfe_u32 v120, v46, 20, 11
	v_sub_nc_u32_e32 v130, 0x3f1, v117
	s_wait_alu 0xfffd
	v_cndmask_b32_e64 v98, 0, 1, vcc_lo
	v_cmp_ne_u32_e32 vcc_lo, 0, v118
	v_add_nc_u32_e32 v59, 0xfffffc10, v111
	v_med3_i32 v111, v129, 0, 13
	v_sub_nc_u32_e32 v131, 0x3f1, v120
	v_lshrrev_b32_e32 v146, 8, v58
	s_wait_alu 0xfffd
	v_cndmask_b32_e64 v101, 0, 1, vcc_lo
	v_cmp_ne_u32_e32 vcc_lo, 0, v121
	v_bfe_u32 v147, v58, 20, 11
	v_lshrrev_b32_e32 v47, 16, v58
	v_add_nc_u32_e32 v58, 0xfffffc10, v114
	v_and_or_b32 v101, 0xffe, v119, v101
	s_wait_alu 0xfffd
	v_cndmask_b32_e64 v112, 0, 1, vcc_lo
	v_cmp_ne_u32_e32 vcc_lo, 0, v79
	v_med3_i32 v114, v130, 0, 13
	v_lshrrev_b32_e32 v96, 8, v29
	v_bfe_u32 v97, v29, 20, 11
	v_and_or_b32 v157, 0x1ff, v66, v65
	s_wait_alu 0xfffd
	v_cndmask_b32_e64 v119, 0, 1, vcc_lo
	v_cmp_ne_u32_e32 vcc_lo, 0, v133
	v_med3_i32 v115, v131, 0, 13
	v_lshrrev_b32_e32 v80, 8, v81
	v_lshrrev_b32_e32 v106, 8, v87
	;; [unrolled: 1-line block ×3, first 2 shown]
	s_wait_alu 0xfffd
	v_cndmask_b32_e64 v125, 0, 1, vcc_lo
	v_cmp_ne_u32_e32 vcc_lo, 0, v136
	v_lshrrev_b32_e32 v32, 16, v89
	v_sub_nc_u32_e32 v89, 0x3f1, v97
	v_and_or_b32 v160, 0x1ff, v68, v67
	v_and_or_b32 v96, 0xffe, v96, v75
	s_wait_alu 0xfffd
	v_cndmask_b32_e64 v126, 0, 1, vcc_lo
	v_cmp_ne_u32_e32 vcc_lo, 0, v139
	v_add_nc_u32_e32 v57, 0xfffffc10, v117
	v_med3_i32 v89, v89, 0, 13
	v_and_or_b32 v117, 0xffe, v80, v72
	v_and_or_b32 v86, 0xffe, v106, v86
	s_wait_alu 0xfffd
	v_cndmask_b32_e64 v127, 0, 1, vcc_lo
	v_cmp_ne_u32_e32 vcc_lo, 0, v142
	v_sub_nc_u32_e32 v106, 0x3f1, v141
	v_add_nc_u32_e32 v80, 0xfffffc10, v141
	v_or_b32_e32 v141, 0x1000, v96
	v_lshrrev_b32_e32 v110, 8, v91
	s_wait_alu 0xfffd
	v_cndmask_b32_e64 v128, 0, 1, vcc_lo
	v_cmp_ne_u32_e32 vcc_lo, 0, v145
	v_and_or_b32 v88, 0xffe, v108, v88
	v_bfe_u32 v123, v35, 20, 11
	v_bfe_u32 v156, v64, 20, 11
	v_and_or_b32 v90, 0xffe, v110, v90
	s_wait_alu 0xfffd
	v_cndmask_b32_e64 v129, 0, 1, vcc_lo
	v_cmp_ne_u32_e32 vcc_lo, 0, v148
	v_cmp_ne_u32_e64 s5, 0, v88
	v_lshrrev_b32_e32 v93, 8, v83
	v_lshrrev_b32_e32 v122, 8, v35
	v_bfe_u32 v159, v66, 20, 11
	s_wait_alu 0xfffd
	v_cndmask_b32_e64 v130, 0, 1, vcc_lo
	v_cmp_ne_u32_e32 vcc_lo, 0, v151
	v_sub_nc_u32_e32 v170, 0x3f1, v123
	v_add_nc_u32_e32 v69, 0xfffffc10, v123
	v_sub_nc_u32_e32 v123, 0x3f1, v156
	v_add_nc_u32_e32 v75, 0xfffffc10, v156
	s_wait_alu 0xfffd
	v_cndmask_b32_e64 v131, 0, 1, vcc_lo
	v_cmp_ne_u32_e32 vcc_lo, 0, v154
	v_or_b32_e32 v156, 0x1000, v88
	v_bfe_u32 v100, v31, 20, 11
	v_add_nc_u32_e32 v65, 0xfffffc10, v97
	v_med3_i32 v97, v124, 0, 13
	s_wait_alu 0xfffd
	v_cndmask_b32_e64 v133, 0, 1, vcc_lo
	v_cmp_ne_u32_e32 vcc_lo, 0, v157
	v_and_or_b32 v93, 0xffe, v93, v74
	v_sub_nc_u32_e32 v124, 0x3f1, v159
	v_and_or_b32 v112, 0xffe, v122, v112
	v_add_nc_u32_e32 v74, 0xfffffc10, v159
	s_wait_alu 0xfffd
	v_cndmask_b32_e64 v136, 0, 1, vcc_lo
	v_cmp_ne_u32_e32 vcc_lo, 0, v160
	v_or_b32_e32 v159, 0x1000, v90
	v_bfe_u32 v92, v81, 20, 11
	v_bfe_u32 v94, v83, 20, 11
	v_lshrrev_b32_e32 v99, 8, v31
	s_wait_alu 0xfffd
	v_cndmask_b32_e64 v139, 0, 1, vcc_lo
	v_cmp_ne_u32_e32 vcc_lo, 0, v163
	v_lshrrev_b32_e32 v163, v89, v141
	v_lshrrev_b32_e32 v36, 16, v31
	;; [unrolled: 1-line block ×3, first 2 shown]
	v_sub_nc_u32_e32 v91, 0x3f1, v100
	v_lshrrev_b32_e32 v134, 8, v50
	v_lshlrev_b32_e32 v89, v89, v163
	v_bfe_u32 v135, v50, 20, 11
	v_lshrrev_b32_e32 v155, 8, v64
	v_lshrrev_b32_e32 v43, 16, v50
	;; [unrolled: 1-line block ×3, first 2 shown]
	v_cmp_ne_u32_e64 s1, v89, v141
	v_lshl_or_b32 v89, v60, 12, v88
	s_wait_alu 0xf1ff
	v_cndmask_b32_e64 v88, 0, 1, s5
	v_cmp_ne_u32_e64 s5, 0, v90
	v_lshl_or_b32 v141, v59, 12, v90
	v_sub_nc_u32_e32 v151, 0x3f1, v167
	v_cmp_ne_u32_e64 s4, 0, v112
	v_lshrrev_b32_e32 v102, 8, v33
	s_wait_alu 0xf1ff
	v_cndmask_b32_e64 v90, 0, 1, s5
	v_lshrrev_b32_e32 v116, 8, v44
	v_lshrrev_b32_e32 v41, 16, v35
	v_lshrrev_b32_e32 v39, 16, v81
	v_lshrrev_b32_e32 v38, 16, v83
	v_lshl_or_b32 v90, v90, 9, 0x7c00
	v_add_nc_u32_e32 v64, 0xfffffc10, v100
	v_and_or_b32 v100, 0xffe, v76, v70
	v_lshrrev_b32_e32 v37, 16, v29
	v_lshrrev_b32_e32 v35, 16, v33
	;; [unrolled: 1-line block ×4, first 2 shown]
	v_sub_nc_u32_e32 v81, 0x3f1, v77
	v_sub_nc_u32_e32 v83, 0x3f1, v92
	;; [unrolled: 1-line block ×3, first 2 shown]
	v_lshrrev_b32_e32 v137, 8, v52
	v_bfe_u32 v138, v52, 20, 11
	v_lshrrev_b32_e32 v161, 8, v68
	v_bfe_u32 v162, v68, 20, 11
	v_lshrrev_b32_e32 v44, 16, v52
	v_lshrrev_b32_e32 v52, 16, v68
	v_add_nc_u32_e32 v68, 0xfffffc10, v77
	v_and_or_b32 v127, 0xffe, v140, v127
	v_or_b32_e32 v140, 0x1000, v112
	v_and_or_b32 v129, 0xffe, v146, v129
	v_med3_i32 v146, v151, 0, 13
	v_lshl_or_b32 v151, v69, 12, v112
	v_cndmask_b32_e64 v112, 0, 1, s4
	v_cmp_ne_u32_e64 s4, 0, v100
	v_lshrrev_b32_e32 v158, 8, v66
	v_lshrrev_b32_e32 v51, 16, v66
	v_add_nc_u32_e32 v67, 0xfffffc10, v92
	v_add_nc_u32_e32 v66, 0xfffffc10, v94
	v_med3_i32 v92, v81, 0, 13
	v_med3_i32 v94, v83, 0, 13
	;; [unrolled: 1-line block ×3, first 2 shown]
	v_sub_nc_u32_e32 v118, 0x3f1, v132
	v_and_or_b32 v84, 0xffe, v104, v84
	v_sub_nc_u32_e32 v104, 0x3f1, v138
	v_add_nc_u32_e32 v83, 0xfffffc10, v132
	v_add_nc_u32_e32 v81, 0xfffffc10, v138
	v_or_b32_e32 v132, 0x1000, v100
	v_or_b32_e32 v138, 0x1000, v93
	v_and_or_b32 v131, 0xffe, v152, v131
	v_lshl_or_b32 v152, v68, 12, v100
	s_wait_alu 0xf1ff
	v_cndmask_b32_e64 v100, 0, 1, s4
	v_cmp_ne_u32_e64 s4, 0, v117
	v_lshrrev_b32_e32 v28, 16, v46
	v_lshrrev_b32_e32 v143, 8, v56
	v_bfe_u32 v144, v56, 20, 11
	v_lshrrev_b32_e32 v46, 16, v56
	v_add_nc_u32_e32 v56, 0xfffffc10, v120
	v_and_or_b32 v102, 0xffe, v102, v82
	v_sub_nc_u32_e32 v120, 0x3f1, v135
	s_wait_alu 0xfffd
	v_cndmask_b32_e64 v142, 0, 1, vcc_lo
	v_cmp_ne_u32_e32 vcc_lo, 0, v71
	v_sub_nc_u32_e32 v157, 0x3f1, v169
	v_add_nc_u32_e32 v82, 0xfffffc10, v135
	v_or_b32_e32 v135, 0x1000, v117
	v_and_or_b32 v133, 0xffe, v155, v133
	v_lshl_or_b32 v155, v67, 12, v117
	v_lshrrev_b32_e32 v160, v87, v138
	s_wait_alu 0xf1ff
	v_cndmask_b32_e64 v117, 0, 1, s4
	v_cmp_ne_u32_e64 s4, 0, v93
	v_and_or_b32 v99, 0xffe, v99, v78
	v_sub_nc_u32_e32 v110, 0x3f1, v147
	s_wait_alu 0xfffd
	v_cndmask_b32_e64 v148, 0, 1, vcc_lo
	v_cmp_ne_u32_e32 vcc_lo, 0, v73
	v_add_nc_u32_e32 v78, 0xfffffc10, v147
	v_or_b32_e32 v147, 0x1000, v102
	v_and_or_b32 v130, 0xffe, v149, v130
	v_med3_i32 v149, v157, 0, 13
	v_lshl_or_b32 v157, v66, 12, v93
	v_lshlrev_b32_e32 v87, v87, v160
	s_wait_alu 0xf1ff
	v_cndmask_b32_e64 v93, 0, 1, s4
	v_cmp_ne_u32_e64 s4, 0, v96
	v_sub_nc_u32_e32 v145, 0x3f1, v165
	s_wait_alu 0xfffd
	v_cndmask_b32_e64 v154, 0, 1, vcc_lo
	v_and_or_b32 v136, 0xffe, v158, v136
	v_lshl_or_b32 v158, v65, 12, v96
	v_cmp_ne_u32_e64 s0, v87, v138
	v_lshrrev_b32_e32 v87, v97, v147
	s_wait_alu 0xf1ff
	v_cndmask_b32_e64 v96, 0, 1, s4
	v_cmp_ne_u32_e64 s4, 0, v99
	v_sub_nc_u32_e32 v108, 0x3f1, v144
	v_sub_nc_u32_e32 v121, 0x3f1, v150
	v_add_nc_u32_e32 v79, 0xfffffc10, v144
	v_add_nc_u32_e32 v77, 0xfffffc10, v150
	v_or_b32_e32 v144, 0x1000, v99
	v_or_b32_e32 v150, 0x1000, v84
	v_and_or_b32 v128, 0xffe, v143, v128
	v_and_or_b32 v139, 0xffe, v161, v139
	v_med3_i32 v143, v145, 0, 13
	v_and_or_b32 v145, 0xffe, v166, v148
	v_and_or_b32 v148, 0xffe, v168, v154
	v_lshrrev_b32_e32 v154, v92, v132
	v_lshl_or_b32 v161, v64, 12, v99
	v_lshlrev_b32_e32 v97, v97, v87
	s_wait_alu 0xf1ff
	v_cndmask_b32_e64 v99, 0, 1, s4
	v_cmp_ne_u32_e64 s4, 0, v102
	v_med3_i32 v91, v91, 0, 13
	v_and_or_b32 v98, 0xffe, v116, v98
	v_sub_nc_u32_e32 v116, 0x3f1, v162
	v_add_nc_u32_e32 v73, 0xfffffc10, v162
	v_lshlrev_b32_e32 v92, v92, v154
	v_lshl_or_b32 v162, v63, 12, v102
	v_cmp_ne_u32_e64 s3, v97, v147
	v_lshrrev_b32_e32 v147, v103, v150
	s_wait_alu 0xf1ff
	v_cndmask_b32_e64 v102, 0, 1, s4
	v_cmp_ne_u32_e64 s4, 0, v84
	v_and_or_b32 v95, 0xffe, v113, v95
	v_sub_nc_u32_e32 v113, 0x3f1, v153
	v_add_nc_u32_e32 v76, 0xfffffc10, v153
	v_or_b32_e32 v153, 0x1000, v86
	v_cmp_ne_u32_e32 vcc_lo, v92, v132
	v_lshl_or_b32 v92, v62, 12, v84
	v_lshrrev_b32_e32 v132, v91, v144
	v_lshlrev_b32_e32 v103, v103, v147
	s_wait_alu 0xf1ff
	v_cndmask_b32_e64 v84, 0, 1, s4
	v_cmp_ne_u32_e64 s4, 0, v86
	v_lshl_or_b32 v138, v61, 12, v86
	v_lshlrev_b32_e32 v91, v91, v132
	v_cmp_ne_u32_e64 s5, 0, v95
	v_and_or_b32 v85, 0xffe, v85, v119
	s_wait_alu 0xf1ff
	v_cndmask_b32_e64 v86, 0, 1, s4
	v_cmp_ne_u32_e64 s4, v103, v150
	v_lshrrev_b32_e32 v103, v105, v153
	v_or_b32_e32 v119, 0x1000, v95
	v_cmp_ne_u32_e64 s2, v91, v144
	v_lshl_or_b32 v91, v58, 12, v95
	v_cndmask_b32_e64 v95, 0, 1, s5
	v_lshlrev_b32_e32 v105, v105, v103
	v_lshrrev_b32_e32 v150, v107, v156
	v_cmp_ne_u32_e64 s5, 0, v98
	v_and_or_b32 v125, 0xffe, v134, v125
	v_or_b32_e32 v134, 0x1000, v98
	v_lshl_or_b32 v144, v57, 12, v98
	v_lshlrev_b32_e32 v107, v107, v150
	s_wait_alu 0xf1ff
	v_cndmask_b32_e64 v98, 0, 1, s5
	v_cmp_ne_u32_e64 s5, v105, v153
	v_lshrrev_b32_e32 v105, v109, v159
	v_cmp_ne_u32_e64 s6, 0, v101
	v_and_or_b32 v126, 0xffe, v137, v126
	v_or_b32_e32 v137, 0x1000, v101
	v_lshl_or_b32 v97, v56, 12, v101
	v_lshrrev_b32_e32 v153, v111, v119
	s_wait_alu 0xf1ff
	v_cndmask_b32_e64 v101, 0, 1, s6
	v_lshlrev_b32_e32 v109, v109, v105
	v_cmp_ne_u32_e64 s6, v107, v156
	v_lshrrev_b32_e32 v156, v114, v134
	v_med3_i32 v118, v118, 0, 13
	v_lshlrev_b32_e32 v111, v111, v153
	v_cmp_ne_u32_e64 s7, v109, v159
	v_or_b32_e32 v109, 0x1000, v85
	v_lshrrev_b32_e32 v159, v115, v137
	v_lshlrev_b32_e32 v114, v114, v156
	v_med3_i32 v120, v120, 0, 13
	v_med3_i32 v104, v104, 0, 13
	v_cmp_ne_u32_e64 s8, v111, v119
	v_or_b32_e32 v111, 0x1000, v125
	v_lshrrev_b32_e32 v119, v118, v109
	v_lshlrev_b32_e32 v115, v115, v159
	v_cmp_ne_u32_e64 s9, v114, v134
	v_or_b32_e32 v114, 0x1000, v126
	v_med3_i32 v106, v106, 0, 13
	v_lshrrev_b32_e32 v134, v120, v111
	v_lshlrev_b32_e32 v118, v118, v119
	v_cmp_ne_u32_e64 s10, v115, v137
	v_or_b32_e32 v115, 0x1000, v127
	v_lshrrev_b32_e32 v137, v104, v114
	v_med3_i32 v108, v108, 0, 13
	v_lshlrev_b32_e32 v120, v120, v134
	v_cmp_ne_u32_e64 s11, v118, v109
	v_or_b32_e32 v109, 0x1000, v128
	v_lshrrev_b32_e32 v118, v106, v115
	v_lshlrev_b32_e32 v104, v104, v137
	v_med3_i32 v121, v121, 0, 13
	v_cmp_ne_u32_e64 s12, v120, v111
	v_lshrrev_b32_e32 v120, v108, v109
	v_lshlrev_b32_e32 v106, v106, v118
	v_cmp_ne_u32_e64 s13, v104, v114
	v_or_b32_e32 v104, 0x1000, v130
	v_med3_i32 v113, v113, 0, 13
	v_lshlrev_b32_e32 v108, v108, v120
	v_cmp_ne_u32_e64 s14, v106, v115
	v_or_b32_e32 v106, 0x1000, v131
	v_lshrrev_b32_e32 v115, v121, v104
	v_med3_i32 v116, v116, 0, 13
	v_cmp_ne_u32_e64 s15, v108, v109
	v_med3_i32 v122, v170, 0, 13
	v_lshrrev_b32_e32 v109, v113, v106
	v_lshlrev_b32_e32 v121, v121, v115
	v_med3_i32 v110, v110, 0, 13
	v_lshrrev_b32_e32 v107, v94, v135
	v_or_b32_e32 v111, 0x1000, v129
	v_lshlrev_b32_e32 v113, v113, v109
	v_cmp_ne_u32_e64 s17, v121, v104
	v_or_b32_e32 v104, 0x1000, v139
	v_lshlrev_b32_e32 v94, v94, v107
	v_lshrrev_b32_e32 v114, v110, v111
	v_cmp_ne_u32_e64 s18, v113, v106
	v_med3_i32 v123, v123, 0, 13
	v_lshrrev_b32_e32 v113, v116, v104
	v_or_b32_e32 v108, 0x1000, v133
	v_lshlrev_b32_e32 v110, v110, v114
	v_med3_i32 v124, v124, 0, 13
	v_and_or_b32 v142, 0xffe, v164, v142
	v_lshlrev_b32_e32 v116, v116, v113
	v_add_nc_u32_e32 v72, 0xfffffc10, v165
	v_cmp_ne_u32_e64 s16, v110, v111
	v_or_b32_e32 v110, 0x1000, v136
	v_lshrrev_b32_e32 v111, v123, v108
	v_cmp_ne_u32_e64 s21, v116, v104
	v_lshrrev_b32_e32 v104, v122, v140
	v_or_b32_e32 v106, 0x1000, v142
	v_lshrrev_b32_e32 v121, v124, v110
	v_lshlrev_b32_e32 v123, v123, v111
	v_add_nc_u32_e32 v71, 0xfffffc10, v167
	v_lshlrev_b32_e32 v122, v122, v104
	v_add_nc_u32_e32 v70, 0xfffffc10, v169
	v_lshlrev_b32_e32 v124, v124, v121
	v_cmp_ne_u32_e64 s19, v123, v108
	v_or_b32_e32 v108, 0x1000, v145
	v_cmp_ne_u32_e64 s25, v122, v140
	s_wait_alu 0xfffd
	v_cndmask_b32_e64 v140, 0, 1, vcc_lo
	v_cmp_ne_u32_e32 vcc_lo, v94, v135
	v_cmp_ne_u32_e64 s20, v124, v110
	v_lshrrev_b32_e32 v124, v146, v108
	v_cndmask_b32_e64 v122, 0, 1, s25
	v_or_b32_e32 v140, v154, v140
	s_wait_alu 0xfffd
	v_cndmask_b32_e64 v135, 0, 1, vcc_lo
	v_cmp_gt_i32_e32 vcc_lo, 1, v69
	v_or_b32_e32 v110, 0x1000, v148
	v_or_b32_e32 v104, v104, v122
	v_cndmask_b32_e64 v122, 0, 1, s0
	v_or_b32_e32 v107, v107, v135
	v_lshlrev_b32_e32 v146, v146, v124
	v_lshrrev_b32_e32 v116, v149, v110
	s_wait_alu 0xfffd
	v_cndmask_b32_e32 v104, v151, v104, vcc_lo
	v_cmp_gt_i32_e32 vcc_lo, 1, v68
	v_or_b32_e32 v122, v160, v122
	v_cmp_ne_u32_e64 s23, v146, v108
	v_lshl_or_b32 v108, v81, 12, v126
	v_lshlrev_b32_e32 v149, v149, v116
	s_wait_alu 0xfffd
	v_cndmask_b32_e32 v140, v152, v140, vcc_lo
	v_cmp_gt_i32_e32 vcc_lo, 1, v67
	v_lshl_or_b32 v146, v80, 12, v127
	v_lshrrev_b32_e32 v123, v143, v106
	v_cmp_ne_u32_e64 s24, v149, v110
	v_lshl_or_b32 v110, v79, 12, v128
	s_wait_alu 0xfffd
	v_cndmask_b32_e32 v107, v155, v107, vcc_lo
	v_cmp_gt_i32_e32 vcc_lo, 1, v66
	v_lshlrev_b32_e32 v143, v143, v123
	v_lshl_or_b32 v149, v78, 12, v129
	v_cndmask_b32_e64 v154, 0, 1, s1
	v_cndmask_b32_e64 v135, 0, 1, s2
	s_wait_alu 0xfffd
	v_cndmask_b32_e32 v122, v157, v122, vcc_lo
	v_cmp_ne_u32_e32 vcc_lo, 0, v126
	v_cmp_ne_u32_e64 s22, v143, v106
	v_lshl_or_b32 v106, v83, 12, v85
	v_cndmask_b32_e64 v160, 0, 1, s3
	v_lshl_or_b32 v143, v82, 12, v125
	s_wait_alu 0xfffd
	v_cndmask_b32_e64 v126, 0, 1, vcc_lo
	v_cmp_ne_u32_e32 vcc_lo, 0, v127
	v_or_b32_e32 v154, v163, v154
	v_cndmask_b32_e64 v163, 0, 1, s4
	v_or_b32_e32 v132, v132, v135
	v_cndmask_b32_e64 v135, 0, 1, s5
	s_wait_alu 0xfffd
	v_cndmask_b32_e64 v127, 0, 1, vcc_lo
	v_cmp_ne_u32_e32 vcc_lo, 0, v128
	v_or_b32_e32 v87, v87, v160
	s_wait_alu 0xf1ff
	v_cndmask_b32_e64 v160, 0, 1, s6
	v_lshl_or_b32 v94, v77, 12, v130
	v_or_b32_e32 v147, v147, v163
	s_wait_alu 0xfffd
	v_cndmask_b32_e64 v128, 0, 1, vcc_lo
	v_cmp_ne_u32_e32 vcc_lo, 0, v129
	v_cndmask_b32_e64 v163, 0, 1, s7
	v_or_b32_e32 v103, v103, v135
	v_cndmask_b32_e64 v135, 0, 1, s8
	v_or_b32_e32 v150, v150, v160
	s_wait_alu 0xfffd
	v_cndmask_b32_e64 v129, 0, 1, vcc_lo
	v_cmp_ne_u32_e32 vcc_lo, 0, v85
	v_cndmask_b32_e64 v160, 0, 1, s9
	v_or_b32_e32 v105, v105, v163
	v_cndmask_b32_e64 v163, 0, 1, s10
	v_or_b32_e32 v135, v153, v135
	s_wait_alu 0xfffd
	v_cndmask_b32_e64 v85, 0, 1, vcc_lo
	v_cmp_ne_u32_e32 vcc_lo, 0, v125
	v_cndmask_b32_e64 v153, 0, 1, s11
	v_or_b32_e32 v156, v156, v160
	v_lshl_or_b32 v160, v76, 12, v131
	v_or_b32_e32 v159, v159, v163
	s_wait_alu 0xfffd
	v_cndmask_b32_e64 v125, 0, 1, vcc_lo
	v_cmp_ne_u32_e32 vcc_lo, 0, v130
	v_cndmask_b32_e64 v163, 0, 1, s12
	v_or_b32_e32 v119, v119, v153
	v_lshl_or_b32 v153, v75, 12, v133
	v_cndmask_b32_e64 v151, 0, 1, s13
	s_wait_alu 0xfffd
	v_cndmask_b32_e64 v130, 0, 1, vcc_lo
	v_cmp_ne_u32_e32 vcc_lo, 0, v131
	v_or_b32_e32 v134, v134, v163
	v_lshl_or_b32 v163, v74, 12, v136
	v_cndmask_b32_e64 v152, 0, 1, s14
	v_or_b32_e32 v137, v137, v151
	s_wait_alu 0xfffd
	v_cndmask_b32_e64 v131, 0, 1, vcc_lo
	v_cmp_ne_u32_e32 vcc_lo, 0, v133
	v_lshl_or_b32 v151, v73, 12, v139
	v_or_b32_e32 v118, v118, v152
	v_lshl_or_b32 v152, v72, 12, v142
	v_cndmask_b32_e64 v155, 0, 1, s15
	s_wait_alu 0xfffd
	v_cndmask_b32_e64 v133, 0, 1, vcc_lo
	v_cmp_ne_u32_e32 vcc_lo, 0, v136
	v_lshl_or_b32 v157, v71, 12, v145
	v_lshl_or_b32 v112, v112, 9, 0x7c00
	v_or_b32_e32 v120, v120, v155
	v_lshl_or_b32 v155, v70, 12, v148
	s_wait_alu 0xfffd
	v_cndmask_b32_e64 v136, 0, 1, vcc_lo
	v_cmp_ne_u32_e32 vcc_lo, 0, v139
	v_lshl_or_b32 v100, v100, 9, 0x7c00
	v_lshl_or_b32 v117, v117, 9, 0x7c00
	v_lshl_or_b32 v93, v93, 9, 0x7c00
	v_lshl_or_b32 v96, v96, 9, 0x7c00
	s_wait_alu 0xfffd
	v_cndmask_b32_e64 v139, 0, 1, vcc_lo
	v_cmp_ne_u32_e32 vcc_lo, 0, v142
	v_lshl_or_b32 v99, v99, 9, 0x7c00
	v_lshl_or_b32 v102, v102, 9, 0x7c00
	v_lshl_or_b32 v84, v84, 9, 0x7c00
	;; [unrolled: 7-line block ×4, first 2 shown]
	v_lshl_or_b32 v127, v127, 9, 0x7c00
	s_wait_alu 0xfffd
	v_cndmask_b32_e64 v148, 0, 1, vcc_lo
	v_cmp_gt_i32_e32 vcc_lo, 1, v65
	v_lshl_or_b32 v128, v128, 9, 0x7c00
	v_lshl_or_b32 v129, v129, 9, 0x7c00
	;; [unrolled: 1-line block ×4, first 2 shown]
	s_wait_alu 0xfffd
	v_cndmask_b32_e32 v154, v158, v154, vcc_lo
	v_cmp_gt_i32_e32 vcc_lo, 1, v64
	v_cndmask_b32_e64 v158, 0, 1, s16
	v_lshl_or_b32 v133, v133, 9, 0x7c00
	v_lshl_or_b32 v136, v136, 9, 0x7c00
	;; [unrolled: 1-line block ×3, first 2 shown]
	s_wait_alu 0xfffd
	v_cndmask_b32_e32 v132, v161, v132, vcc_lo
	v_cmp_gt_i32_e32 vcc_lo, 1, v63
	v_or_b32_e32 v114, v114, v158
	v_cndmask_b32_e64 v158, 0, 1, s17
	v_cndmask_b32_e64 v161, 0, 1, s18
	v_lshl_or_b32 v142, v142, 9, 0x7c00
	s_wait_alu 0xfffd
	v_cndmask_b32_e32 v87, v162, v87, vcc_lo
	v_cmp_gt_i32_e32 vcc_lo, 1, v62
	v_or_b32_e32 v115, v115, v158
	v_cndmask_b32_e64 v158, 0, 1, s19
	v_or_b32_e32 v109, v109, v161
	v_cndmask_b32_e64 v162, 0, 1, s20
	s_wait_alu 0xfffd
	v_cndmask_b32_e32 v92, v92, v147, vcc_lo
	v_cmp_gt_i32_e32 vcc_lo, 1, v61
	v_or_b32_e32 v111, v111, v158
	v_cndmask_b32_e64 v161, 0, 1, s21
	v_or_b32_e32 v121, v121, v162
	v_cndmask_b32_e64 v147, 0, 1, s22
	s_wait_alu 0xfffd
	v_cndmask_b32_e32 v103, v138, v103, vcc_lo
	v_cmp_gt_i32_e32 vcc_lo, 1, v60
	v_or_b32_e32 v113, v113, v161
	v_cndmask_b32_e64 v158, 0, 1, s23
	v_or_b32_e32 v123, v123, v147
	v_cndmask_b32_e64 v138, 0, 1, s24
	s_wait_alu 0xfffd
	v_cndmask_b32_e32 v89, v89, v150, vcc_lo
	v_cmp_gt_i32_e32 vcc_lo, 1, v59
	v_or_b32_e32 v124, v124, v158
	v_lshl_or_b32 v145, v145, 9, 0x7c00
	v_or_b32_e32 v116, v116, v138
	v_and_b32_e32 v147, 7, v89
	s_wait_alu 0xfffd
	v_cndmask_b32_e32 v105, v141, v105, vcc_lo
	v_cmp_gt_i32_e32 vcc_lo, 1, v58
	v_and_b32_e32 v141, 7, v132
	v_lshrrev_b32_e32 v132, 2, v132
	v_cmp_lt_i32_e64 s17, 5, v147
	v_cmp_eq_u32_e64 s18, 3, v147
	s_wait_alu 0xfffd
	v_cndmask_b32_e32 v91, v91, v135, vcc_lo
	v_cmp_gt_i32_e32 vcc_lo, 1, v57
	v_cmp_lt_i32_e64 s9, 5, v141
	v_cmp_eq_u32_e64 s10, 3, v141
	v_lshrrev_b32_e32 v89, 2, v89
	s_wait_alu 0xfffd
	v_dual_cndmask_b32 v135, v144, v156 :: v_dual_and_b32 v150, 7, v91
	v_cmp_gt_i32_e32 vcc_lo, 1, v56
	v_and_b32_e32 v144, 7, v92
	v_lshrrev_b32_e32 v92, 2, v92
	v_and_b32_e32 v138, 7, v154
	v_cmp_lt_i32_e64 s21, 5, v150
	s_wait_alu 0xfffd
	v_cndmask_b32_e32 v97, v97, v159, vcc_lo
	v_cmp_gt_i32_e32 vcc_lo, 1, v83
	v_cmp_lt_i32_e64 s13, 5, v144
	v_cmp_eq_u32_e64 s14, 3, v144
	v_cmp_eq_u32_e64 s22, 3, v150
	v_lshrrev_b32_e32 v91, 2, v91
	s_wait_alu 0xfffd
	v_cndmask_b32_e32 v106, v106, v119, vcc_lo
	v_cmp_gt_i32_e32 vcc_lo, 1, v82
	v_cmp_lt_i32_e64 s7, 5, v138
	v_cmp_eq_u32_e64 s8, 3, v138
	v_lshl_or_b32 v148, v148, 9, 0x7c00
	s_wait_alu 0xfffd
	v_cndmask_b32_e32 v119, v143, v134, vcc_lo
	v_cmp_gt_i32_e32 vcc_lo, 1, v81
	v_and_b32_e32 v134, 7, v107
	v_and_b32_e32 v143, 7, v87
	v_lshrrev_b32_e32 v87, 2, v87
	v_lshrrev_b32_e32 v107, 2, v107
	s_wait_alu 0xfffd
	v_cndmask_b32_e32 v108, v108, v137, vcc_lo
	v_cmp_gt_i32_e32 vcc_lo, 1, v80
	v_cmp_lt_i32_e64 s3, 5, v134
	v_cmp_eq_u32_e64 s4, 3, v134
	v_cmp_lt_i32_e64 s11, 5, v143
	v_cmp_eq_u32_e64 s12, 3, v143
	s_wait_alu 0xfffd
	v_cndmask_b32_e32 v118, v146, v118, vcc_lo
	v_cmp_gt_i32_e32 vcc_lo, 1, v79
	v_and_b32_e32 v146, 7, v103
	v_lshrrev_b32_e32 v103, 2, v103
	v_and_b32_e32 v137, 7, v122
	v_lshrrev_b32_e32 v122, 2, v122
	s_wait_alu 0xfffd
	v_cndmask_b32_e32 v110, v110, v120, vcc_lo
	v_cmp_gt_i32_e32 vcc_lo, 1, v78
	v_cmp_lt_i32_e64 s15, 5, v146
	v_cmp_eq_u32_e64 s16, 3, v146
	v_cmp_lt_i32_e64 s5, 5, v137
	v_cmp_eq_u32_e64 s6, 3, v137
	s_wait_alu 0xfffd
	v_cndmask_b32_e32 v114, v149, v114, vcc_lo
	v_cmp_gt_i32_e32 vcc_lo, 1, v77
	v_and_b32_e32 v149, 7, v105
	v_lshrrev_b32_e32 v105, 2, v105
	v_and_b32_e32 v134, 7, v108
	;; [unrolled: 14-line block ×3, first 2 shown]
	v_lshrrev_b32_e32 v110, 2, v110
	s_wait_alu 0xfffd
	v_cndmask_b32_e32 v111, v153, v111, vcc_lo
	v_cmp_gt_i32_e32 vcc_lo, 1, v74
	v_lshrrev_b32_e32 v153, 2, v154
	v_cmp_lt_i32_e64 s34, 5, v137
	v_cmp_eq_u32_e64 s35, 3, v137
	v_cmp_lt_i32_e64 s36, 5, v138
	s_wait_alu 0xfffd
	v_cndmask_b32_e32 v115, v163, v121, vcc_lo
	v_cmp_gt_i32_e32 vcc_lo, 1, v73
	v_cmp_eq_u32_e64 s37, 3, v138
	v_and_b32_e32 v141, 7, v114
	v_lshrrev_b32_e32 v114, 2, v114
	v_and_b32_e32 v143, 7, v94
	s_wait_alu 0xfffd
	v_cndmask_b32_e32 v113, v151, v113, vcc_lo
	v_cmp_gt_i32_e32 vcc_lo, 1, v72
	v_and_b32_e32 v151, 7, v135
	v_lshrrev_b32_e32 v135, 2, v135
	v_cmp_lt_i32_e64 s38, 5, v141
	v_cmp_eq_u32_e64 s39, 3, v141
	s_wait_alu 0xfffd
	v_cndmask_b32_e32 v120, v152, v123, vcc_lo
	v_cmp_gt_i32_e32 vcc_lo, 1, v71
	v_and_b32_e32 v123, 7, v104
	v_lshrrev_b32_e32 v104, 2, v104
	v_and_b32_e32 v152, 7, v97
	v_and_b32_e32 v150, 7, v120
	s_wait_alu 0xfffd
	v_cndmask_b32_e32 v121, v157, v124, vcc_lo
	v_cmp_gt_i32_e32 vcc_lo, 1, v70
	v_and_b32_e32 v124, 7, v140
	v_cmp_eq_u32_e64 s0, 3, v123
	v_lshrrev_b32_e32 v140, 2, v140
	v_cmp_lt_i32_e64 s23, 5, v151
	s_wait_alu 0xfffd
	v_cndmask_b32_e32 v116, v155, v116, vcc_lo
	v_cmp_lt_i32_e32 vcc_lo, 5, v123
	v_cmp_lt_i32_e64 s1, 5, v124
	v_cmp_eq_u32_e64 s2, 3, v124
	v_and_b32_e32 v123, 7, v106
	v_cmp_eq_u32_e64 s24, 3, v151
	s_or_b32 vcc_lo, s0, vcc_lo
	v_and_b32_e32 v151, 7, v121
	s_or_b32 s0, s2, s1
	s_or_b32 s1, s4, s3
	;; [unrolled: 1-line block ×3, first 2 shown]
	s_wait_alu 0xfffe
	v_add_co_ci_u32_e32 v104, vcc_lo, 0, v104, vcc_lo
	v_add_co_ci_u32_e64 v132, s4, 0, v132, s4
	s_or_b32 s4, s12, s11
	v_and_b32_e32 v124, 7, v119
	s_wait_alu 0xfffe
	v_add_co_ci_u32_e64 v87, s4, 0, v87, s4
	s_or_b32 s4, s14, s13
	v_cmp_lt_i32_e64 s50, 5, v150
	s_wait_alu 0xfffe
	v_add_co_ci_u32_e64 v92, s4, 0, v92, s4
	s_or_b32 s4, s16, s15
	v_cmp_eq_u32_e32 vcc_lo, 3, v150
	s_wait_alu 0xfffe
	v_add_co_ci_u32_e64 v103, s4, 0, v103, s4
	s_or_b32 s4, s18, s17
	v_cmp_lt_i32_e64 s25, 5, v152
	s_wait_alu 0xfffe
	v_add_co_ci_u32_e64 v89, s4, 0, v89, s4
	s_or_b32 s4, s20, s19
	v_cmp_eq_u32_e64 s26, 3, v152
	s_wait_alu 0xfffe
	v_add_co_ci_u32_e64 v105, s4, 0, v105, s4
	s_or_b32 s4, s22, s21
	v_and_b32_e32 v152, 7, v116
	v_lshrrev_b32_e32 v120, 2, v120
	v_cmp_lt_i32_e64 s27, 5, v123
	v_cmp_eq_u32_e64 s28, 3, v123
	v_add_co_ci_u32_e64 v123, s0, 0, v140, s0
	v_add_co_ci_u32_e64 v107, s1, 0, v107, s1
	s_wait_alu 0xfffe
	v_add_co_ci_u32_e64 v91, s4, 0, v91, s4
	v_lshrrev_b32_e32 v97, 2, v97
	v_cmp_lt_i32_e64 s0, 5, v151
	v_cmp_eq_u32_e64 s1, 3, v151
	s_or_b32 s2, s6, s5
	s_or_b32 s3, s8, s7
	;; [unrolled: 1-line block ×3, first 2 shown]
	v_lshrrev_b32_e32 v121, 2, v121
	v_cmp_lt_i32_e64 s29, 5, v124
	v_cmp_eq_u32_e64 s30, 3, v124
	s_wait_alu 0xfffe
	v_add_co_ci_u32_e64 v122, s2, 0, v122, s2
	v_add_co_ci_u32_e64 v124, s3, 0, v153, s3
	;; [unrolled: 1-line block ×3, first 2 shown]
	s_or_b32 vcc_lo, vcc_lo, s50
	v_cmp_lt_i32_e64 s2, 5, v152
	v_cmp_eq_u32_e64 s3, 3, v152
	s_or_b32 s4, s26, s25
	s_wait_alu 0xfffe
	v_add_co_ci_u32_e32 v120, vcc_lo, 0, v120, vcc_lo
	v_lshrrev_b32_e32 v116, 2, v116
	v_add_co_ci_u32_e64 v97, s4, 0, v97, s4
	s_or_b32 vcc_lo, s1, s0
	v_cmp_gt_i32_e64 s4, 31, v69
	s_wait_alu 0xfffe
	v_add_co_ci_u32_e32 v121, vcc_lo, 0, v121, vcc_lo
	s_or_b32 vcc_lo, s3, s2
	v_lshrrev_b32_e32 v106, 2, v106
	s_wait_alu 0xfffe
	v_add_co_ci_u32_e32 v116, vcc_lo, 0, v116, vcc_lo
	v_cndmask_b32_e64 v104, 0x7c00, v104, s4
	v_cmp_gt_i32_e64 s4, 31, v68
	v_cmp_eq_u32_e32 vcc_lo, 0x40f, v69
	v_lshrrev_b32_e32 v119, 2, v119
	v_and_b32_e32 v144, 7, v109
	v_cmp_lt_i32_e64 s40, 5, v143
	s_wait_alu 0xf1ff
	v_cndmask_b32_e64 v123, 0x7c00, v123, s4
	s_wait_alu 0xfffd
	v_cndmask_b32_e32 v69, v104, v112, vcc_lo
	v_cmp_eq_u32_e32 vcc_lo, 0x40f, v68
	s_or_b32 s4, s33, s31
	v_cmp_eq_u32_e64 s41, 3, v143
	s_wait_alu 0xfffe
	v_add_co_ci_u32_e64 v108, s4, 0, v108, s4
	v_cmp_gt_i32_e64 s4, 31, v67
	s_wait_alu 0xfffd
	v_cndmask_b32_e32 v68, v123, v100, vcc_lo
	v_cmp_gt_i32_e32 vcc_lo, 31, v81
	v_lshrrev_b32_e32 v94, 2, v94
	v_and_b32_e32 v146, 7, v111
	s_wait_alu 0xf1ff
	v_cndmask_b32_e64 v107, 0x7c00, v107, s4
	s_or_b32 s4, s35, s34
	s_wait_alu 0xfffd
	v_cndmask_b32_e32 v100, 0x7c00, v108, vcc_lo
	v_cmp_eq_u32_e32 vcc_lo, 0x40f, v67
	s_wait_alu 0xfffe
	v_add_co_ci_u32_e64 v118, s4, 0, v118, s4
	v_cmp_gt_i32_e64 s4, 31, v66
	v_cmp_lt_i32_e64 s42, 5, v144
	s_wait_alu 0xfffd
	v_cndmask_b32_e32 v67, v107, v117, vcc_lo
	v_cmp_gt_i32_e32 vcc_lo, 31, v80
	v_cmp_eq_u32_e64 s43, 3, v144
	s_wait_alu 0xf1ff
	v_cndmask_b32_e64 v122, 0x7c00, v122, s4
	s_or_b32 s4, s37, s36
	v_lshrrev_b32_e32 v109, 2, v109
	s_wait_alu 0xfffd
	v_cndmask_b32_e32 v104, 0x7c00, v118, vcc_lo
	v_cmp_eq_u32_e32 vcc_lo, 0x40f, v66
	s_wait_alu 0xfffe
	v_add_co_ci_u32_e64 v110, s4, 0, v110, s4
	v_cmp_gt_i32_e64 s4, 31, v65
	s_wait_alu 0xfffd
	v_dual_cndmask_b32 v66, v122, v93 :: v_dual_and_b32 v147, 7, v115
	v_cmp_gt_i32_e32 vcc_lo, 31, v79
	v_cmp_lt_i32_e64 s44, 5, v146
	s_wait_alu 0xf1ff
	v_cndmask_b32_e64 v124, 0x7c00, v124, s4
	s_or_b32 s4, s39, s38
	v_cmp_eq_u32_e64 s45, 3, v146
	s_wait_alu 0xfffd
	v_cndmask_b32_e32 v93, 0x7c00, v110, vcc_lo
	v_cmp_eq_u32_e32 vcc_lo, 0x40f, v65
	s_wait_alu 0xfffe
	v_add_co_ci_u32_e64 v114, s4, 0, v114, s4
	v_cmp_gt_i32_e64 s4, 31, v64
	v_lshrrev_b32_e32 v111, 2, v111
	s_wait_alu 0xfffd
	v_cndmask_b32_e32 v65, v124, v96, vcc_lo
	v_cmp_gt_i32_e32 vcc_lo, 31, v78
	v_and_b32_e32 v149, 7, v113
	s_wait_alu 0xf1ff
	v_cndmask_b32_e64 v132, 0x7c00, v132, s4
	v_cmp_gt_i32_e64 s4, 31, v63
	v_cmp_lt_i32_e64 s46, 5, v147
	s_wait_alu 0xfffd
	v_cndmask_b32_e32 v96, 0x7c00, v114, vcc_lo
	v_cmp_eq_u32_e32 vcc_lo, 0x40f, v64
	v_cmp_eq_u32_e64 s47, 3, v147
	s_wait_alu 0xf1ff
	v_cndmask_b32_e64 v87, 0x7c00, v87, s4
	v_cmp_gt_i32_e64 s4, 31, v62
	v_lshrrev_b32_e32 v115, 2, v115
	s_wait_alu 0xfffd
	v_cndmask_b32_e32 v64, v132, v99, vcc_lo
	v_cmp_eq_u32_e32 vcc_lo, 0x40f, v63
	v_cmp_lt_i32_e64 s48, 5, v149
	s_wait_alu 0xf1ff
	v_cndmask_b32_e64 v92, 0x7c00, v92, s4
	v_cmp_gt_i32_e64 s4, 31, v61
	v_cmp_eq_u32_e64 s49, 3, v149
	s_wait_alu 0xfffd
	v_cndmask_b32_e32 v63, v87, v102, vcc_lo
	v_cmp_eq_u32_e32 vcc_lo, 0x40f, v62
	v_lshrrev_b32_e32 v113, 2, v113
	s_wait_alu 0xf1ff
	v_cndmask_b32_e64 v103, 0x7c00, v103, s4
	v_cmp_gt_i32_e64 s4, 31, v60
	v_and_or_b32 v41, 0x8000, v41, v69
	s_wait_alu 0xfffd
	v_cndmask_b32_e32 v62, v92, v84, vcc_lo
	v_cmp_eq_u32_e32 vcc_lo, 0x40f, v61
	v_and_or_b32 v40, 0x8000, v40, v68
	s_wait_alu 0xf1ff
	v_cndmask_b32_e64 v89, 0x7c00, v89, s4
	v_cmp_gt_i32_e64 s4, 31, v59
	v_and_or_b32 v39, 0x8000, v39, v67
	s_wait_alu 0xfffd
	v_cndmask_b32_e32 v61, v103, v86, vcc_lo
	v_cmp_eq_u32_e32 vcc_lo, 0x40f, v60
	v_and_or_b32 v38, 0x8000, v38, v66
	;; [unrolled: 8-line block ×5, first 2 shown]
	s_wait_alu 0xf1ff
	v_cndmask_b32_e64 v97, 0x7c00, v97, s4
	s_or_b32 s4, s28, s27
	v_and_or_b32 v31, 0x8000, v31, v59
	s_wait_alu 0xfffd
	v_cndmask_b32_e32 v57, v134, v98, vcc_lo
	v_cmp_eq_u32_e32 vcc_lo, 0x40f, v56
	s_wait_alu 0xfffe
	v_add_co_ci_u32_e64 v106, s4, 0, v106, s4
	s_or_b32 s4, s30, s29
	v_and_or_b32 v30, 0x8000, v30, v58
	s_wait_alu 0xfffd
	v_cndmask_b32_e32 v56, v97, v101, vcc_lo
	v_cmp_gt_i32_e32 vcc_lo, 31, v83
	s_wait_alu 0xf1fe
	v_add_co_ci_u32_e64 v119, s4, 0, v119, s4
	s_or_b32 s4, s41, s40
	v_and_or_b32 v29, 0x8000, v29, v57
	s_wait_alu 0xfffd
	v_cndmask_b32_e32 v84, 0x7c00, v106, vcc_lo
	v_cmp_gt_i32_e32 vcc_lo, 31, v82
	;; [unrolled: 7-line block ×3, first 2 shown]
	s_wait_alu 0xf1fe
	v_add_co_ci_u32_e64 v109, s4, 0, v109, s4
	s_or_b32 s4, s45, s44
	s_wait_alu 0xfffd
	v_cndmask_b32_e32 v87, 0x7c00, v94, vcc_lo
	v_cmp_gt_i32_e32 vcc_lo, 31, v76
	s_wait_alu 0xf1fe
	v_add_co_ci_u32_e64 v111, s4, 0, v111, s4
	s_or_b32 s4, s47, s46
	s_wait_alu 0xfffd
	v_cndmask_b32_e32 v88, 0x7c00, v109, vcc_lo
	v_cmp_gt_i32_e32 vcc_lo, 31, v75
	;; [unrolled: 6-line block ×3, first 2 shown]
	s_wait_alu 0xf1fe
	v_add_co_ci_u32_e64 v113, s4, 0, v113, s4
	s_wait_alu 0xfffd
	v_cndmask_b32_e32 v90, 0x7c00, v115, vcc_lo
	v_cmp_gt_i32_e32 vcc_lo, 31, v73
	s_wait_alu 0xfffd
	v_cndmask_b32_e32 v91, 0x7c00, v113, vcc_lo
	v_cmp_gt_i32_e32 vcc_lo, 31, v72
	;; [unrolled: 3-line block ×4, first 2 shown]
	s_wait_alu 0xfffd
	v_cndmask_b32_e32 v95, 0x7c00, v116, vcc_lo
	v_cmp_eq_u32_e32 vcc_lo, 0x40f, v83
	s_wait_alu 0xfffd
	v_cndmask_b32_e32 v83, v84, v85, vcc_lo
	v_cmp_eq_u32_e32 vcc_lo, 0x40f, v82
	s_delay_alu instid0(VALU_DEP_2) | instskip(SKIP_3) | instid1(VALU_DEP_3)
	v_and_or_b32 v42, 0x8000, v42, v83
	s_wait_alu 0xfffd
	v_cndmask_b32_e32 v69, v86, v125, vcc_lo
	v_cmp_eq_u32_e32 vcc_lo, 0x40f, v81
	v_and_b32_e32 v42, 0xffff, v42
	s_delay_alu instid0(VALU_DEP_3)
	v_and_or_b32 v43, 0x8000, v43, v69
	s_wait_alu 0xfffd
	v_cndmask_b32_e32 v68, v100, v126, vcc_lo
	v_cmp_eq_u32_e32 vcc_lo, 0x40f, v80
	v_lshl_or_b32 v41, v41, 16, v42
	v_and_b32_e32 v43, 0xffff, v43
	s_delay_alu instid0(VALU_DEP_4)
	v_and_or_b32 v44, 0x8000, v44, v68
	s_wait_alu 0xfffd
	v_cndmask_b32_e32 v67, v104, v127, vcc_lo
	v_cmp_eq_u32_e32 vcc_lo, 0x40f, v79
	v_lshl_or_b32 v40, v40, 16, v43
	v_and_b32_e32 v44, 0xffff, v44
	s_delay_alu instid0(VALU_DEP_4)
	;; [unrolled: 7-line block ×10, first 2 shown]
	v_and_or_b32 v53, 0x8000, v53, v59
	s_wait_alu 0xfffd
	v_cndmask_b32_e32 v58, v94, v145, vcc_lo
	v_cmp_eq_u32_e32 vcc_lo, 0x40f, v70
	v_lshl_or_b32 v31, v31, 16, v52
	v_and_b32_e32 v53, 0xffff, v53
	s_delay_alu instid0(VALU_DEP_4) | instskip(SKIP_2) | instid1(VALU_DEP_3)
	v_and_or_b32 v54, 0x8000, v54, v58
	s_wait_alu 0xfffd
	v_cndmask_b32_e32 v57, v95, v148, vcc_lo
	v_lshl_or_b32 v30, v30, 16, v53
	s_delay_alu instid0(VALU_DEP_3) | instskip(NEXT) | instid1(VALU_DEP_3)
	v_and_b32_e32 v54, 0xffff, v54
	v_and_or_b32 v55, 0x8000, v55, v57
	s_delay_alu instid0(VALU_DEP_2) | instskip(NEXT) | instid1(VALU_DEP_2)
	v_lshl_or_b32 v29, v29, 16, v54
	v_and_b32_e32 v55, 0xffff, v55
	s_delay_alu instid0(VALU_DEP_1)
	v_lshl_or_b32 v28, v28, 16, v55
	s_clause 0x4
	global_store_b32 v[0:1], v41, off
	global_store_b32 v[2:3], v40, off
	;; [unrolled: 1-line block ×14, first 2 shown]
.LBB0_2:
	s_nop 0
	s_sendmsg sendmsg(MSG_DEALLOC_VGPRS)
	s_endpgm
	.section	.rodata,"a",@progbits
	.p2align	6, 0x0
	.amdhsa_kernel bluestein_single_fwd_len224_dim1_half_op_CI_CI
		.amdhsa_group_segment_fixed_size 3584
		.amdhsa_private_segment_fixed_size 0
		.amdhsa_kernarg_size 104
		.amdhsa_user_sgpr_count 2
		.amdhsa_user_sgpr_dispatch_ptr 0
		.amdhsa_user_sgpr_queue_ptr 0
		.amdhsa_user_sgpr_kernarg_segment_ptr 1
		.amdhsa_user_sgpr_dispatch_id 0
		.amdhsa_user_sgpr_private_segment_size 0
		.amdhsa_wavefront_size32 1
		.amdhsa_uses_dynamic_stack 0
		.amdhsa_enable_private_segment 0
		.amdhsa_system_sgpr_workgroup_id_x 1
		.amdhsa_system_sgpr_workgroup_id_y 0
		.amdhsa_system_sgpr_workgroup_id_z 0
		.amdhsa_system_sgpr_workgroup_info 0
		.amdhsa_system_vgpr_workitem_id 0
		.amdhsa_next_free_vgpr 171
		.amdhsa_next_free_sgpr 51
		.amdhsa_reserve_vcc 1
		.amdhsa_float_round_mode_32 0
		.amdhsa_float_round_mode_16_64 0
		.amdhsa_float_denorm_mode_32 3
		.amdhsa_float_denorm_mode_16_64 3
		.amdhsa_fp16_overflow 0
		.amdhsa_workgroup_processor_mode 1
		.amdhsa_memory_ordered 1
		.amdhsa_forward_progress 0
		.amdhsa_round_robin_scheduling 0
		.amdhsa_exception_fp_ieee_invalid_op 0
		.amdhsa_exception_fp_denorm_src 0
		.amdhsa_exception_fp_ieee_div_zero 0
		.amdhsa_exception_fp_ieee_overflow 0
		.amdhsa_exception_fp_ieee_underflow 0
		.amdhsa_exception_fp_ieee_inexact 0
		.amdhsa_exception_int_div_zero 0
	.end_amdhsa_kernel
	.text
.Lfunc_end0:
	.size	bluestein_single_fwd_len224_dim1_half_op_CI_CI, .Lfunc_end0-bluestein_single_fwd_len224_dim1_half_op_CI_CI
                                        ; -- End function
	.section	.AMDGPU.csdata,"",@progbits
; Kernel info:
; codeLenInByte = 22836
; NumSgprs: 53
; NumVgprs: 171
; ScratchSize: 0
; MemoryBound: 0
; FloatMode: 240
; IeeeMode: 1
; LDSByteSize: 3584 bytes/workgroup (compile time only)
; SGPRBlocks: 6
; VGPRBlocks: 21
; NumSGPRsForWavesPerEU: 53
; NumVGPRsForWavesPerEU: 171
; Occupancy: 8
; WaveLimiterHint : 1
; COMPUTE_PGM_RSRC2:SCRATCH_EN: 0
; COMPUTE_PGM_RSRC2:USER_SGPR: 2
; COMPUTE_PGM_RSRC2:TRAP_HANDLER: 0
; COMPUTE_PGM_RSRC2:TGID_X_EN: 1
; COMPUTE_PGM_RSRC2:TGID_Y_EN: 0
; COMPUTE_PGM_RSRC2:TGID_Z_EN: 0
; COMPUTE_PGM_RSRC2:TIDIG_COMP_CNT: 0
	.text
	.p2alignl 7, 3214868480
	.fill 96, 4, 3214868480
	.type	__hip_cuid_bb4a7380add0891b,@object ; @__hip_cuid_bb4a7380add0891b
	.section	.bss,"aw",@nobits
	.globl	__hip_cuid_bb4a7380add0891b
__hip_cuid_bb4a7380add0891b:
	.byte	0                               ; 0x0
	.size	__hip_cuid_bb4a7380add0891b, 1

	.ident	"AMD clang version 19.0.0git (https://github.com/RadeonOpenCompute/llvm-project roc-6.4.0 25133 c7fe45cf4b819c5991fe208aaa96edf142730f1d)"
	.section	".note.GNU-stack","",@progbits
	.addrsig
	.addrsig_sym __hip_cuid_bb4a7380add0891b
	.amdgpu_metadata
---
amdhsa.kernels:
  - .args:
      - .actual_access:  read_only
        .address_space:  global
        .offset:         0
        .size:           8
        .value_kind:     global_buffer
      - .actual_access:  read_only
        .address_space:  global
        .offset:         8
        .size:           8
        .value_kind:     global_buffer
      - .actual_access:  read_only
        .address_space:  global
        .offset:         16
        .size:           8
        .value_kind:     global_buffer
      - .actual_access:  read_only
        .address_space:  global
        .offset:         24
        .size:           8
        .value_kind:     global_buffer
      - .actual_access:  read_only
        .address_space:  global
        .offset:         32
        .size:           8
        .value_kind:     global_buffer
      - .offset:         40
        .size:           8
        .value_kind:     by_value
      - .address_space:  global
        .offset:         48
        .size:           8
        .value_kind:     global_buffer
      - .address_space:  global
        .offset:         56
        .size:           8
        .value_kind:     global_buffer
      - .address_space:  global
        .offset:         64
        .size:           8
        .value_kind:     global_buffer
      - .address_space:  global
        .offset:         72
        .size:           8
        .value_kind:     global_buffer
      - .offset:         80
        .size:           4
        .value_kind:     by_value
      - .address_space:  global
        .offset:         88
        .size:           8
        .value_kind:     global_buffer
      - .address_space:  global
        .offset:         96
        .size:           8
        .value_kind:     global_buffer
    .group_segment_fixed_size: 3584
    .kernarg_segment_align: 8
    .kernarg_segment_size: 104
    .language:       OpenCL C
    .language_version:
      - 2
      - 0
    .max_flat_workgroup_size: 64
    .name:           bluestein_single_fwd_len224_dim1_half_op_CI_CI
    .private_segment_fixed_size: 0
    .sgpr_count:     53
    .sgpr_spill_count: 0
    .symbol:         bluestein_single_fwd_len224_dim1_half_op_CI_CI.kd
    .uniform_work_group_size: 1
    .uses_dynamic_stack: false
    .vgpr_count:     171
    .vgpr_spill_count: 0
    .wavefront_size: 32
    .workgroup_processor_mode: 1
amdhsa.target:   amdgcn-amd-amdhsa--gfx1201
amdhsa.version:
  - 1
  - 2
...

	.end_amdgpu_metadata
